;; amdgpu-corpus repo=ROCm/rocSPARSE kind=compiled arch=gfx906 opt=O3
	.amdgcn_target "amdgcn-amd-amdhsa--gfx906"
	.amdhsa_code_object_version 6
	.section	.text._ZN9rocsparseL23check_matrix_ell_deviceILj256EfiEEvT1_S1_S1_PKT0_PKS1_21rocsparse_index_base_22rocsparse_matrix_type_20rocsparse_fill_mode_23rocsparse_storage_mode_P22rocsparse_data_status_,"axG",@progbits,_ZN9rocsparseL23check_matrix_ell_deviceILj256EfiEEvT1_S1_S1_PKT0_PKS1_21rocsparse_index_base_22rocsparse_matrix_type_20rocsparse_fill_mode_23rocsparse_storage_mode_P22rocsparse_data_status_,comdat
	.globl	_ZN9rocsparseL23check_matrix_ell_deviceILj256EfiEEvT1_S1_S1_PKT0_PKS1_21rocsparse_index_base_22rocsparse_matrix_type_20rocsparse_fill_mode_23rocsparse_storage_mode_P22rocsparse_data_status_ ; -- Begin function _ZN9rocsparseL23check_matrix_ell_deviceILj256EfiEEvT1_S1_S1_PKT0_PKS1_21rocsparse_index_base_22rocsparse_matrix_type_20rocsparse_fill_mode_23rocsparse_storage_mode_P22rocsparse_data_status_
	.p2align	8
	.type	_ZN9rocsparseL23check_matrix_ell_deviceILj256EfiEEvT1_S1_S1_PKT0_PKS1_21rocsparse_index_base_22rocsparse_matrix_type_20rocsparse_fill_mode_23rocsparse_storage_mode_P22rocsparse_data_status_,@function
_ZN9rocsparseL23check_matrix_ell_deviceILj256EfiEEvT1_S1_S1_PKT0_PKS1_21rocsparse_index_base_22rocsparse_matrix_type_20rocsparse_fill_mode_23rocsparse_storage_mode_P22rocsparse_data_status_: ; @_ZN9rocsparseL23check_matrix_ell_deviceILj256EfiEEvT1_S1_S1_PKT0_PKS1_21rocsparse_index_base_22rocsparse_matrix_type_20rocsparse_fill_mode_23rocsparse_storage_mode_P22rocsparse_data_status_
; %bb.0:
	s_load_dwordx4 s[8:11], s[4:5], 0x0
	v_lshl_or_b32 v0, s6, 8, v0
	s_waitcnt lgkmcnt(0)
	s_cmp_gt_i32 s10, 0
	v_cmp_gt_i32_e32 vcc, s8, v0
	s_cselect_b64 s[0:1], -1, 0
	s_and_b64 s[0:1], vcc, s[0:1]
	s_and_saveexec_b64 s[2:3], s[0:1]
	s_cbranch_execz .LBB0_27
; %bb.1:
	s_load_dwordx2 s[14:15], s[4:5], 0x18
	v_ashrrev_i32_e32 v1, 31, v0
	v_lshlrev_b64 v[2:3], 2, v[0:1]
	s_waitcnt lgkmcnt(0)
	v_mov_b32_e32 v1, s15
	v_add_co_u32_e32 v0, vcc, s14, v2
	v_addc_co_u32_e32 v1, vcc, v1, v3, vcc
	global_load_dword v4, v[0:1], off
	s_waitcnt vmcnt(0)
	v_cmp_ne_u32_e32 vcc, -1, v4
	s_and_b64 exec, exec, vcc
	s_cbranch_execz .LBB0_27
; %bb.2:
	s_load_dword s33, s[4:5], 0x20
	v_mov_b32_e32 v6, 4
	s_waitcnt lgkmcnt(0)
	v_subrev_u32_e32 v4, s33, v4
	v_cmp_lt_i32_e32 vcc, -1, v4
	v_cmp_gt_i32_e64 s[0:1], s9, v4
	s_and_b64 s[0:1], vcc, s[0:1]
	s_xor_b64 s[6:7], s[0:1], -1
	s_and_saveexec_b64 s[12:13], s[0:1]
	s_cbranch_execz .LBB0_25
; %bb.3:
	s_load_dwordx2 s[18:19], s[4:5], 0x10
	s_mov_b32 s2, 0x7f800000
	v_mov_b32_e32 v6, 1
	s_waitcnt lgkmcnt(0)
	v_mov_b32_e32 v5, s19
	v_add_co_u32_e32 v4, vcc, s18, v2
	v_addc_co_u32_e32 v5, vcc, v5, v3, vcc
	global_load_dword v4, v[4:5], off
	s_waitcnt vmcnt(0)
	v_cmp_eq_f32_e64 s[0:1], s2, v4
	v_cmp_neq_f32_e32 vcc, s2, v4
	s_and_saveexec_b64 s[16:17], vcc
	s_cbranch_execz .LBB0_24
; %bb.4:
	v_cmp_o_f32_e32 vcc, v4, v4
	s_mov_b64 s[2:3], -1
	v_mov_b32_e32 v6, 2
	s_and_saveexec_b64 s[20:21], vcc
	s_cbranch_execz .LBB0_23
; %bb.5:
	s_cmp_lg_u32 s10, 1
	s_cbranch_scc0 .LBB0_20
; %bb.6:
	s_load_dword s2, s[4:5], 0x2c
	s_mov_b32 s22, 0
	s_mov_b64 s[30:31], 0
	v_mov_b32_e32 v5, s15
                                        ; implicit-def: $sgpr28_sgpr29
                                        ; implicit-def: $sgpr34_sgpr35
                                        ; implicit-def: $sgpr36_sgpr37
	s_waitcnt lgkmcnt(0)
	s_cmp_eq_u32 s2, 0
	s_cselect_b64 s[24:25], -1, 0
	s_cmp_lg_u32 s2, 0
	s_cselect_b64 s[26:27], -1, 0
	s_ashr_i32 s3, s8, 31
	s_mov_b32 s2, s8
	s_add_i32 s52, s10, -1
	s_lshl_b64 s[10:11], s[2:3], 2
	v_mov_b32_e32 v4, s11
	v_add_co_u32_e32 v2, vcc, s10, v2
	v_addc_co_u32_e32 v3, vcc, v4, v3, vcc
	s_mov_b32 s11, 0x7f800000
	s_branch .LBB0_12
.LBB0_7:                                ;   in Loop: Header=BB0_12 Depth=1
	s_or_b64 exec, exec, s[46:47]
	v_mov_b32_e32 v6, s15
	s_and_b64 s[46:47], s[44:45], exec
	s_orn2_b64 s[44:45], s[48:49], exec
.LBB0_8:                                ;   in Loop: Header=BB0_12 Depth=1
	s_or_b64 exec, exec, s[42:43]
	s_and_b64 s[46:47], s[46:47], exec
	s_orn2_b64 s[42:43], s[44:45], exec
.LBB0_9:                                ;   in Loop: Header=BB0_12 Depth=1
	s_or_b64 exec, exec, s[40:41]
	s_and_b64 s[44:45], s[46:47], exec
	s_orn2_b64 s[40:41], s[42:43], exec
.LBB0_10:                               ;   in Loop: Header=BB0_12 Depth=1
	s_or_b64 exec, exec, s[2:3]
	s_andn2_b64 s[2:3], s[36:37], exec
	s_and_b64 s[36:37], s[44:45], exec
	s_or_b64 s[36:37], s[2:3], s[36:37]
	s_andn2_b64 s[2:3], s[34:35], exec
	s_and_b64 s[34:35], s[40:41], exec
	s_or_b64 s[34:35], s[2:3], s[34:35]
.LBB0_11:                               ;   in Loop: Header=BB0_12 Depth=1
	s_or_b64 exec, exec, s[38:39]
	s_xor_b64 s[2:3], s[36:37], -1
	s_and_b64 s[38:39], exec, s[34:35]
	s_or_b64 s[30:31], s[38:39], s[30:31]
	s_andn2_b64 s[28:29], s[28:29], exec
	s_and_b64 s[2:3], s[2:3], exec
	s_or_b64 s[28:29], s[28:29], s[2:3]
	s_andn2_b64 exec, exec, s[30:31]
	s_cbranch_execz .LBB0_21
.LBB0_12:                               ; =>This Inner Loop Header: Depth=1
	v_add_co_u32_e32 v6, vcc, s14, v2
	v_addc_co_u32_e32 v7, vcc, v5, v3, vcc
	global_load_dword v7, v[6:7], off
	s_or_b64 s[36:37], s[36:37], exec
	s_or_b64 s[34:35], s[34:35], exec
                                        ; implicit-def: $vgpr6
	s_waitcnt vmcnt(0)
	v_cmp_ne_u32_e32 vcc, -1, v7
	s_and_saveexec_b64 s[38:39], vcc
	s_cbranch_execz .LBB0_11
; %bb.13:                               ;   in Loop: Header=BB0_12 Depth=1
	v_subrev_u32_e32 v6, s33, v7
	v_cmp_lt_i32_e32 vcc, -1, v6
	v_cmp_gt_i32_e64 s[2:3], s9, v6
	s_and_b64 s[42:43], vcc, s[2:3]
	s_mov_b64 s[40:41], -1
	v_mov_b32_e32 v6, 4
	s_mov_b64 s[44:45], 0
	s_and_saveexec_b64 s[2:3], s[42:43]
	s_cbranch_execz .LBB0_10
; %bb.14:                               ;   in Loop: Header=BB0_12 Depth=1
	v_mov_b32_e32 v6, s19
	v_add_co_u32_e32 v8, vcc, s18, v2
	v_addc_co_u32_e32 v9, vcc, v6, v3, vcc
	global_load_dword v8, v[8:9], off
	s_mov_b64 s[42:43], -1
	v_mov_b32_e32 v6, 1
	s_mov_b64 s[46:47], 0
	s_waitcnt vmcnt(0)
	v_cmp_neq_f32_e32 vcc, s11, v8
	s_and_saveexec_b64 s[40:41], vcc
	s_cbranch_execz .LBB0_9
; %bb.15:                               ;   in Loop: Header=BB0_12 Depth=1
	v_cmp_o_f32_e32 vcc, v8, v8
	s_mov_b64 s[44:45], -1
	v_mov_b32_e32 v6, 2
	s_and_saveexec_b64 s[42:43], vcc
	s_cbranch_execz .LBB0_8
; %bb.16:                               ;   in Loop: Header=BB0_12 Depth=1
	s_mov_b32 s15, 2
	s_and_b64 vcc, exec, s[24:25]
	s_mov_b64 s[50:51], s[26:27]
	s_cbranch_vccz .LBB0_18
; %bb.17:                               ;   in Loop: Header=BB0_12 Depth=1
	s_ashr_i32 s23, s22, 31
	s_lshl_b64 s[44:45], s[22:23], 2
	v_mov_b32_e32 v6, s45
	v_add_co_u32_e32 v8, vcc, s44, v0
	v_addc_co_u32_e32 v9, vcc, v1, v6, vcc
	global_load_dword v6, v[8:9], off
	s_andn2_b64 s[44:45], s[26:27], exec
	s_mov_b32 s15, 6
	s_waitcnt vmcnt(0)
	v_cmp_lt_i32_e32 vcc, v6, v7
	s_and_b64 s[46:47], vcc, exec
	s_or_b64 s[50:51], s[44:45], s[46:47]
.LBB0_18:                               ;   in Loop: Header=BB0_12 Depth=1
	s_mov_b64 s[48:49], -1
	s_mov_b64 s[44:45], 0
	s_and_saveexec_b64 s[46:47], s[50:51]
	s_cbranch_execz .LBB0_7
; %bb.19:                               ;   in Loop: Header=BB0_12 Depth=1
	s_add_i32 s52, s52, -1
	s_add_i32 s22, s22, s8
	s_cmp_eq_u32 s52, 0
	v_add_co_u32_e32 v2, vcc, s10, v2
	s_cselect_b64 s[48:49], -1, 0
	s_mov_b64 s[44:45], exec
	v_addc_co_u32_e32 v3, vcc, v3, v4, vcc
	s_orn2_b64 s[48:49], s[48:49], exec
	s_branch .LBB0_7
.LBB0_20:
	s_mov_b64 s[28:29], 0
	v_mov_b32_e32 v6, 2
	s_branch .LBB0_22
.LBB0_21:
	s_or_b64 exec, exec, s[30:31]
.LBB0_22:
	s_orn2_b64 s[2:3], s[28:29], exec
.LBB0_23:
	s_or_b64 exec, exec, s[20:21]
	s_andn2_b64 s[0:1], s[0:1], exec
	s_and_b64 s[2:3], s[2:3], exec
	s_or_b64 s[0:1], s[0:1], s[2:3]
.LBB0_24:
	s_or_b64 exec, exec, s[16:17]
	s_andn2_b64 s[2:3], s[6:7], exec
	s_and_b64 s[0:1], s[0:1], exec
	s_or_b64 s[6:7], s[2:3], s[0:1]
.LBB0_25:
	s_or_b64 exec, exec, s[12:13]
	s_and_b64 exec, exec, s[6:7]
	s_cbranch_execz .LBB0_27
; %bb.26:
	s_load_dwordx2 s[0:1], s[4:5], 0x30
	v_mov_b32_e32 v0, 0
	s_waitcnt lgkmcnt(0)
	global_store_dword v0, v6, s[0:1]
.LBB0_27:
	s_endpgm
	.section	.rodata,"a",@progbits
	.p2align	6, 0x0
	.amdhsa_kernel _ZN9rocsparseL23check_matrix_ell_deviceILj256EfiEEvT1_S1_S1_PKT0_PKS1_21rocsparse_index_base_22rocsparse_matrix_type_20rocsparse_fill_mode_23rocsparse_storage_mode_P22rocsparse_data_status_
		.amdhsa_group_segment_fixed_size 0
		.amdhsa_private_segment_fixed_size 0
		.amdhsa_kernarg_size 56
		.amdhsa_user_sgpr_count 6
		.amdhsa_user_sgpr_private_segment_buffer 1
		.amdhsa_user_sgpr_dispatch_ptr 0
		.amdhsa_user_sgpr_queue_ptr 0
		.amdhsa_user_sgpr_kernarg_segment_ptr 1
		.amdhsa_user_sgpr_dispatch_id 0
		.amdhsa_user_sgpr_flat_scratch_init 0
		.amdhsa_user_sgpr_private_segment_size 0
		.amdhsa_uses_dynamic_stack 0
		.amdhsa_system_sgpr_private_segment_wavefront_offset 0
		.amdhsa_system_sgpr_workgroup_id_x 1
		.amdhsa_system_sgpr_workgroup_id_y 0
		.amdhsa_system_sgpr_workgroup_id_z 0
		.amdhsa_system_sgpr_workgroup_info 0
		.amdhsa_system_vgpr_workitem_id 0
		.amdhsa_next_free_vgpr 10
		.amdhsa_next_free_sgpr 53
		.amdhsa_reserve_vcc 1
		.amdhsa_reserve_flat_scratch 0
		.amdhsa_float_round_mode_32 0
		.amdhsa_float_round_mode_16_64 0
		.amdhsa_float_denorm_mode_32 3
		.amdhsa_float_denorm_mode_16_64 3
		.amdhsa_dx10_clamp 1
		.amdhsa_ieee_mode 1
		.amdhsa_fp16_overflow 0
		.amdhsa_exception_fp_ieee_invalid_op 0
		.amdhsa_exception_fp_denorm_src 0
		.amdhsa_exception_fp_ieee_div_zero 0
		.amdhsa_exception_fp_ieee_overflow 0
		.amdhsa_exception_fp_ieee_underflow 0
		.amdhsa_exception_fp_ieee_inexact 0
		.amdhsa_exception_int_div_zero 0
	.end_amdhsa_kernel
	.section	.text._ZN9rocsparseL23check_matrix_ell_deviceILj256EfiEEvT1_S1_S1_PKT0_PKS1_21rocsparse_index_base_22rocsparse_matrix_type_20rocsparse_fill_mode_23rocsparse_storage_mode_P22rocsparse_data_status_,"axG",@progbits,_ZN9rocsparseL23check_matrix_ell_deviceILj256EfiEEvT1_S1_S1_PKT0_PKS1_21rocsparse_index_base_22rocsparse_matrix_type_20rocsparse_fill_mode_23rocsparse_storage_mode_P22rocsparse_data_status_,comdat
.Lfunc_end0:
	.size	_ZN9rocsparseL23check_matrix_ell_deviceILj256EfiEEvT1_S1_S1_PKT0_PKS1_21rocsparse_index_base_22rocsparse_matrix_type_20rocsparse_fill_mode_23rocsparse_storage_mode_P22rocsparse_data_status_, .Lfunc_end0-_ZN9rocsparseL23check_matrix_ell_deviceILj256EfiEEvT1_S1_S1_PKT0_PKS1_21rocsparse_index_base_22rocsparse_matrix_type_20rocsparse_fill_mode_23rocsparse_storage_mode_P22rocsparse_data_status_
                                        ; -- End function
	.set _ZN9rocsparseL23check_matrix_ell_deviceILj256EfiEEvT1_S1_S1_PKT0_PKS1_21rocsparse_index_base_22rocsparse_matrix_type_20rocsparse_fill_mode_23rocsparse_storage_mode_P22rocsparse_data_status_.num_vgpr, 10
	.set _ZN9rocsparseL23check_matrix_ell_deviceILj256EfiEEvT1_S1_S1_PKT0_PKS1_21rocsparse_index_base_22rocsparse_matrix_type_20rocsparse_fill_mode_23rocsparse_storage_mode_P22rocsparse_data_status_.num_agpr, 0
	.set _ZN9rocsparseL23check_matrix_ell_deviceILj256EfiEEvT1_S1_S1_PKT0_PKS1_21rocsparse_index_base_22rocsparse_matrix_type_20rocsparse_fill_mode_23rocsparse_storage_mode_P22rocsparse_data_status_.numbered_sgpr, 53
	.set _ZN9rocsparseL23check_matrix_ell_deviceILj256EfiEEvT1_S1_S1_PKT0_PKS1_21rocsparse_index_base_22rocsparse_matrix_type_20rocsparse_fill_mode_23rocsparse_storage_mode_P22rocsparse_data_status_.num_named_barrier, 0
	.set _ZN9rocsparseL23check_matrix_ell_deviceILj256EfiEEvT1_S1_S1_PKT0_PKS1_21rocsparse_index_base_22rocsparse_matrix_type_20rocsparse_fill_mode_23rocsparse_storage_mode_P22rocsparse_data_status_.private_seg_size, 0
	.set _ZN9rocsparseL23check_matrix_ell_deviceILj256EfiEEvT1_S1_S1_PKT0_PKS1_21rocsparse_index_base_22rocsparse_matrix_type_20rocsparse_fill_mode_23rocsparse_storage_mode_P22rocsparse_data_status_.uses_vcc, 1
	.set _ZN9rocsparseL23check_matrix_ell_deviceILj256EfiEEvT1_S1_S1_PKT0_PKS1_21rocsparse_index_base_22rocsparse_matrix_type_20rocsparse_fill_mode_23rocsparse_storage_mode_P22rocsparse_data_status_.uses_flat_scratch, 0
	.set _ZN9rocsparseL23check_matrix_ell_deviceILj256EfiEEvT1_S1_S1_PKT0_PKS1_21rocsparse_index_base_22rocsparse_matrix_type_20rocsparse_fill_mode_23rocsparse_storage_mode_P22rocsparse_data_status_.has_dyn_sized_stack, 0
	.set _ZN9rocsparseL23check_matrix_ell_deviceILj256EfiEEvT1_S1_S1_PKT0_PKS1_21rocsparse_index_base_22rocsparse_matrix_type_20rocsparse_fill_mode_23rocsparse_storage_mode_P22rocsparse_data_status_.has_recursion, 0
	.set _ZN9rocsparseL23check_matrix_ell_deviceILj256EfiEEvT1_S1_S1_PKT0_PKS1_21rocsparse_index_base_22rocsparse_matrix_type_20rocsparse_fill_mode_23rocsparse_storage_mode_P22rocsparse_data_status_.has_indirect_call, 0
	.section	.AMDGPU.csdata,"",@progbits
; Kernel info:
; codeLenInByte = 792
; TotalNumSgprs: 57
; NumVgprs: 10
; ScratchSize: 0
; MemoryBound: 0
; FloatMode: 240
; IeeeMode: 1
; LDSByteSize: 0 bytes/workgroup (compile time only)
; SGPRBlocks: 7
; VGPRBlocks: 2
; NumSGPRsForWavesPerEU: 57
; NumVGPRsForWavesPerEU: 10
; Occupancy: 10
; WaveLimiterHint : 0
; COMPUTE_PGM_RSRC2:SCRATCH_EN: 0
; COMPUTE_PGM_RSRC2:USER_SGPR: 6
; COMPUTE_PGM_RSRC2:TRAP_HANDLER: 0
; COMPUTE_PGM_RSRC2:TGID_X_EN: 1
; COMPUTE_PGM_RSRC2:TGID_Y_EN: 0
; COMPUTE_PGM_RSRC2:TGID_Z_EN: 0
; COMPUTE_PGM_RSRC2:TIDIG_COMP_CNT: 0
	.section	.text._ZN9rocsparseL23check_matrix_ell_deviceILj256EdiEEvT1_S1_S1_PKT0_PKS1_21rocsparse_index_base_22rocsparse_matrix_type_20rocsparse_fill_mode_23rocsparse_storage_mode_P22rocsparse_data_status_,"axG",@progbits,_ZN9rocsparseL23check_matrix_ell_deviceILj256EdiEEvT1_S1_S1_PKT0_PKS1_21rocsparse_index_base_22rocsparse_matrix_type_20rocsparse_fill_mode_23rocsparse_storage_mode_P22rocsparse_data_status_,comdat
	.globl	_ZN9rocsparseL23check_matrix_ell_deviceILj256EdiEEvT1_S1_S1_PKT0_PKS1_21rocsparse_index_base_22rocsparse_matrix_type_20rocsparse_fill_mode_23rocsparse_storage_mode_P22rocsparse_data_status_ ; -- Begin function _ZN9rocsparseL23check_matrix_ell_deviceILj256EdiEEvT1_S1_S1_PKT0_PKS1_21rocsparse_index_base_22rocsparse_matrix_type_20rocsparse_fill_mode_23rocsparse_storage_mode_P22rocsparse_data_status_
	.p2align	8
	.type	_ZN9rocsparseL23check_matrix_ell_deviceILj256EdiEEvT1_S1_S1_PKT0_PKS1_21rocsparse_index_base_22rocsparse_matrix_type_20rocsparse_fill_mode_23rocsparse_storage_mode_P22rocsparse_data_status_,@function
_ZN9rocsparseL23check_matrix_ell_deviceILj256EdiEEvT1_S1_S1_PKT0_PKS1_21rocsparse_index_base_22rocsparse_matrix_type_20rocsparse_fill_mode_23rocsparse_storage_mode_P22rocsparse_data_status_: ; @_ZN9rocsparseL23check_matrix_ell_deviceILj256EdiEEvT1_S1_S1_PKT0_PKS1_21rocsparse_index_base_22rocsparse_matrix_type_20rocsparse_fill_mode_23rocsparse_storage_mode_P22rocsparse_data_status_
; %bb.0:
	s_load_dwordx4 s[8:11], s[4:5], 0x0
	v_lshl_or_b32 v2, s6, 8, v0
	s_waitcnt lgkmcnt(0)
	s_cmp_gt_i32 s10, 0
	v_cmp_gt_i32_e32 vcc, s8, v2
	s_cselect_b64 s[0:1], -1, 0
	s_and_b64 s[0:1], vcc, s[0:1]
	s_and_saveexec_b64 s[2:3], s[0:1]
	s_cbranch_execz .LBB1_27
; %bb.1:
	s_load_dwordx2 s[2:3], s[4:5], 0x18
	v_ashrrev_i32_e32 v3, 31, v2
	v_lshlrev_b64 v[4:5], 2, v[2:3]
	s_waitcnt lgkmcnt(0)
	v_mov_b32_e32 v1, s3
	v_add_co_u32_e32 v0, vcc, s2, v4
	v_addc_co_u32_e32 v1, vcc, v1, v5, vcc
	global_load_dword v6, v[0:1], off
	s_waitcnt vmcnt(0)
	v_cmp_ne_u32_e32 vcc, -1, v6
	s_and_b64 exec, exec, vcc
	s_cbranch_execz .LBB1_27
; %bb.2:
	s_load_dword s33, s[4:5], 0x20
	v_mov_b32_e32 v8, 4
	s_waitcnt lgkmcnt(0)
	v_subrev_u32_e32 v6, s33, v6
	v_cmp_lt_i32_e32 vcc, -1, v6
	v_cmp_gt_i32_e64 s[0:1], s9, v6
	s_and_b64 s[0:1], vcc, s[0:1]
	s_xor_b64 s[6:7], s[0:1], -1
	s_and_saveexec_b64 s[12:13], s[0:1]
	s_cbranch_execz .LBB1_25
; %bb.3:
	s_load_dwordx2 s[24:25], s[4:5], 0x10
	v_lshlrev_b64 v[2:3], 3, v[2:3]
	s_mov_b32 s14, 0
	s_mov_b32 s15, 0x7ff00000
	v_mov_b32_e32 v8, 1
	s_waitcnt lgkmcnt(0)
	v_mov_b32_e32 v7, s25
	v_add_co_u32_e32 v6, vcc, s24, v2
	v_addc_co_u32_e32 v7, vcc, v7, v3, vcc
	global_load_dwordx2 v[6:7], v[6:7], off
	s_waitcnt vmcnt(0)
	v_cmp_eq_f64_e64 s[0:1], s[14:15], v[6:7]
	v_cmp_neq_f64_e32 vcc, s[14:15], v[6:7]
	s_and_saveexec_b64 s[14:15], vcc
	s_cbranch_execz .LBB1_24
; %bb.4:
	v_cmp_o_f64_e32 vcc, v[6:7], v[6:7]
	s_mov_b64 s[18:19], -1
	v_mov_b32_e32 v8, 2
	s_and_saveexec_b64 s[16:17], vcc
	s_cbranch_execz .LBB1_23
; %bb.5:
	s_cmp_lg_u32 s10, 1
	s_cbranch_scc0 .LBB1_20
; %bb.6:
	s_load_dword s11, s[4:5], 0x2c
	s_mov_b32 s26, s8
	s_mov_b32 s30, 0
	;; [unrolled: 1-line block ×4, first 2 shown]
	s_waitcnt lgkmcnt(0)
	s_cmp_eq_u32 s11, 0
	s_cselect_b64 s[20:21], -1, 0
	s_cmp_lg_u32 s11, 0
	s_cselect_b64 s[22:23], -1, 0
	s_ashr_i32 s27, s8, 31
	s_add_i32 s52, s10, -1
	s_lshl_b64 s[10:11], s[26:27], 3
	s_add_u32 s19, s24, s10
	s_addc_u32 s24, s25, s11
	v_mov_b32_e32 v6, s24
	s_lshl_b64 s[24:25], s[26:27], 2
	v_add_co_u32_e32 v2, vcc, s19, v2
	s_add_u32 s2, s2, s24
	v_addc_co_u32_e32 v3, vcc, v6, v3, vcc
	s_addc_u32 s3, s3, s25
	v_mov_b32_e32 v6, s3
	v_add_co_u32_e32 v4, vcc, s2, v4
	v_addc_co_u32_e32 v5, vcc, v6, v5, vcc
	s_mov_b64 s[28:29], 0
                                        ; implicit-def: $sgpr26_sgpr27
                                        ; implicit-def: $sgpr34_sgpr35
                                        ; implicit-def: $sgpr36_sgpr37
	s_branch .LBB1_12
.LBB1_7:                                ;   in Loop: Header=BB1_12 Depth=1
	s_or_b64 exec, exec, s[46:47]
	v_mov_b32_e32 v8, s19
	s_and_b64 s[46:47], s[44:45], exec
	s_orn2_b64 s[44:45], s[48:49], exec
.LBB1_8:                                ;   in Loop: Header=BB1_12 Depth=1
	s_or_b64 exec, exec, s[42:43]
	s_and_b64 s[46:47], s[46:47], exec
	s_orn2_b64 s[42:43], s[44:45], exec
.LBB1_9:                                ;   in Loop: Header=BB1_12 Depth=1
	s_or_b64 exec, exec, s[40:41]
	s_and_b64 s[44:45], s[46:47], exec
	s_orn2_b64 s[40:41], s[42:43], exec
.LBB1_10:                               ;   in Loop: Header=BB1_12 Depth=1
	s_or_b64 exec, exec, s[2:3]
	s_andn2_b64 s[2:3], s[36:37], exec
	s_and_b64 s[36:37], s[44:45], exec
	s_or_b64 s[36:37], s[2:3], s[36:37]
	s_andn2_b64 s[2:3], s[34:35], exec
	s_and_b64 s[34:35], s[40:41], exec
	s_or_b64 s[34:35], s[2:3], s[34:35]
.LBB1_11:                               ;   in Loop: Header=BB1_12 Depth=1
	s_or_b64 exec, exec, s[38:39]
	s_xor_b64 s[2:3], s[36:37], -1
	s_and_b64 s[38:39], exec, s[34:35]
	s_or_b64 s[28:29], s[38:39], s[28:29]
	s_andn2_b64 s[26:27], s[26:27], exec
	s_and_b64 s[2:3], s[2:3], exec
	s_or_b64 s[26:27], s[26:27], s[2:3]
	s_andn2_b64 exec, exec, s[28:29]
	s_cbranch_execz .LBB1_21
.LBB1_12:                               ; =>This Inner Loop Header: Depth=1
	global_load_dword v9, v[4:5], off
	s_or_b64 s[36:37], s[36:37], exec
	s_or_b64 s[34:35], s[34:35], exec
                                        ; implicit-def: $vgpr8
	s_waitcnt vmcnt(0)
	v_cmp_ne_u32_e32 vcc, -1, v9
	s_and_saveexec_b64 s[38:39], vcc
	s_cbranch_execz .LBB1_11
; %bb.13:                               ;   in Loop: Header=BB1_12 Depth=1
	v_subrev_u32_e32 v6, s33, v9
	v_cmp_lt_i32_e32 vcc, -1, v6
	v_cmp_gt_i32_e64 s[2:3], s9, v6
	s_and_b64 s[42:43], vcc, s[2:3]
	s_mov_b64 s[40:41], -1
	v_mov_b32_e32 v8, 4
	s_mov_b64 s[44:45], 0
	s_and_saveexec_b64 s[2:3], s[42:43]
	s_cbranch_execz .LBB1_10
; %bb.14:                               ;   in Loop: Header=BB1_12 Depth=1
	global_load_dwordx2 v[6:7], v[2:3], off
	s_mov_b64 s[42:43], -1
	v_mov_b32_e32 v8, 1
	s_mov_b64 s[46:47], 0
	s_waitcnt vmcnt(0)
	v_cmp_neq_f64_e32 vcc, s[30:31], v[6:7]
	s_and_saveexec_b64 s[40:41], vcc
	s_cbranch_execz .LBB1_9
; %bb.15:                               ;   in Loop: Header=BB1_12 Depth=1
	v_cmp_o_f64_e32 vcc, v[6:7], v[6:7]
	s_mov_b64 s[44:45], -1
	v_mov_b32_e32 v8, 2
	s_and_saveexec_b64 s[42:43], vcc
	s_cbranch_execz .LBB1_8
; %bb.16:                               ;   in Loop: Header=BB1_12 Depth=1
	s_mov_b32 s19, 2
	s_and_b64 vcc, exec, s[20:21]
	s_mov_b64 s[50:51], s[22:23]
	s_cbranch_vccz .LBB1_18
; %bb.17:                               ;   in Loop: Header=BB1_12 Depth=1
	s_ashr_i32 s19, s18, 31
	s_lshl_b64 s[44:45], s[18:19], 2
	v_mov_b32_e32 v7, s45
	v_add_co_u32_e32 v6, vcc, s44, v0
	v_addc_co_u32_e32 v7, vcc, v1, v7, vcc
	global_load_dword v6, v[6:7], off
	s_andn2_b64 s[44:45], s[22:23], exec
	s_mov_b32 s19, 6
	s_waitcnt vmcnt(0)
	v_cmp_lt_i32_e32 vcc, v6, v9
	s_and_b64 s[46:47], vcc, exec
	s_or_b64 s[50:51], s[44:45], s[46:47]
.LBB1_18:                               ;   in Loop: Header=BB1_12 Depth=1
	s_mov_b64 s[48:49], -1
	s_mov_b64 s[44:45], 0
	s_and_saveexec_b64 s[46:47], s[50:51]
	s_cbranch_execz .LBB1_7
; %bb.19:                               ;   in Loop: Header=BB1_12 Depth=1
	s_add_i32 s52, s52, -1
	v_mov_b32_e32 v6, s11
	v_add_co_u32_e32 v2, vcc, s10, v2
	s_add_i32 s18, s18, s8
	v_addc_co_u32_e32 v3, vcc, v3, v6, vcc
	s_cmp_eq_u32 s52, 0
	v_mov_b32_e32 v6, s25
	v_add_co_u32_e32 v4, vcc, s24, v4
	s_cselect_b64 s[48:49], -1, 0
	s_mov_b64 s[44:45], exec
	v_addc_co_u32_e32 v5, vcc, v5, v6, vcc
	s_orn2_b64 s[48:49], s[48:49], exec
	s_branch .LBB1_7
.LBB1_20:
	s_mov_b64 s[26:27], 0
	v_mov_b32_e32 v8, 2
	s_branch .LBB1_22
.LBB1_21:
	s_or_b64 exec, exec, s[28:29]
.LBB1_22:
	s_orn2_b64 s[18:19], s[26:27], exec
.LBB1_23:
	s_or_b64 exec, exec, s[16:17]
	s_andn2_b64 s[0:1], s[0:1], exec
	s_and_b64 s[2:3], s[18:19], exec
	s_or_b64 s[0:1], s[0:1], s[2:3]
.LBB1_24:
	s_or_b64 exec, exec, s[14:15]
	s_andn2_b64 s[2:3], s[6:7], exec
	s_and_b64 s[0:1], s[0:1], exec
	s_or_b64 s[6:7], s[2:3], s[0:1]
.LBB1_25:
	s_or_b64 exec, exec, s[12:13]
	s_and_b64 exec, exec, s[6:7]
	s_cbranch_execz .LBB1_27
; %bb.26:
	s_load_dwordx2 s[0:1], s[4:5], 0x30
	v_mov_b32_e32 v0, 0
	s_waitcnt lgkmcnt(0)
	global_store_dword v0, v8, s[0:1]
.LBB1_27:
	s_endpgm
	.section	.rodata,"a",@progbits
	.p2align	6, 0x0
	.amdhsa_kernel _ZN9rocsparseL23check_matrix_ell_deviceILj256EdiEEvT1_S1_S1_PKT0_PKS1_21rocsparse_index_base_22rocsparse_matrix_type_20rocsparse_fill_mode_23rocsparse_storage_mode_P22rocsparse_data_status_
		.amdhsa_group_segment_fixed_size 0
		.amdhsa_private_segment_fixed_size 0
		.amdhsa_kernarg_size 56
		.amdhsa_user_sgpr_count 6
		.amdhsa_user_sgpr_private_segment_buffer 1
		.amdhsa_user_sgpr_dispatch_ptr 0
		.amdhsa_user_sgpr_queue_ptr 0
		.amdhsa_user_sgpr_kernarg_segment_ptr 1
		.amdhsa_user_sgpr_dispatch_id 0
		.amdhsa_user_sgpr_flat_scratch_init 0
		.amdhsa_user_sgpr_private_segment_size 0
		.amdhsa_uses_dynamic_stack 0
		.amdhsa_system_sgpr_private_segment_wavefront_offset 0
		.amdhsa_system_sgpr_workgroup_id_x 1
		.amdhsa_system_sgpr_workgroup_id_y 0
		.amdhsa_system_sgpr_workgroup_id_z 0
		.amdhsa_system_sgpr_workgroup_info 0
		.amdhsa_system_vgpr_workitem_id 0
		.amdhsa_next_free_vgpr 10
		.amdhsa_next_free_sgpr 53
		.amdhsa_reserve_vcc 1
		.amdhsa_reserve_flat_scratch 0
		.amdhsa_float_round_mode_32 0
		.amdhsa_float_round_mode_16_64 0
		.amdhsa_float_denorm_mode_32 3
		.amdhsa_float_denorm_mode_16_64 3
		.amdhsa_dx10_clamp 1
		.amdhsa_ieee_mode 1
		.amdhsa_fp16_overflow 0
		.amdhsa_exception_fp_ieee_invalid_op 0
		.amdhsa_exception_fp_denorm_src 0
		.amdhsa_exception_fp_ieee_div_zero 0
		.amdhsa_exception_fp_ieee_overflow 0
		.amdhsa_exception_fp_ieee_underflow 0
		.amdhsa_exception_fp_ieee_inexact 0
		.amdhsa_exception_int_div_zero 0
	.end_amdhsa_kernel
	.section	.text._ZN9rocsparseL23check_matrix_ell_deviceILj256EdiEEvT1_S1_S1_PKT0_PKS1_21rocsparse_index_base_22rocsparse_matrix_type_20rocsparse_fill_mode_23rocsparse_storage_mode_P22rocsparse_data_status_,"axG",@progbits,_ZN9rocsparseL23check_matrix_ell_deviceILj256EdiEEvT1_S1_S1_PKT0_PKS1_21rocsparse_index_base_22rocsparse_matrix_type_20rocsparse_fill_mode_23rocsparse_storage_mode_P22rocsparse_data_status_,comdat
.Lfunc_end1:
	.size	_ZN9rocsparseL23check_matrix_ell_deviceILj256EdiEEvT1_S1_S1_PKT0_PKS1_21rocsparse_index_base_22rocsparse_matrix_type_20rocsparse_fill_mode_23rocsparse_storage_mode_P22rocsparse_data_status_, .Lfunc_end1-_ZN9rocsparseL23check_matrix_ell_deviceILj256EdiEEvT1_S1_S1_PKT0_PKS1_21rocsparse_index_base_22rocsparse_matrix_type_20rocsparse_fill_mode_23rocsparse_storage_mode_P22rocsparse_data_status_
                                        ; -- End function
	.set _ZN9rocsparseL23check_matrix_ell_deviceILj256EdiEEvT1_S1_S1_PKT0_PKS1_21rocsparse_index_base_22rocsparse_matrix_type_20rocsparse_fill_mode_23rocsparse_storage_mode_P22rocsparse_data_status_.num_vgpr, 10
	.set _ZN9rocsparseL23check_matrix_ell_deviceILj256EdiEEvT1_S1_S1_PKT0_PKS1_21rocsparse_index_base_22rocsparse_matrix_type_20rocsparse_fill_mode_23rocsparse_storage_mode_P22rocsparse_data_status_.num_agpr, 0
	.set _ZN9rocsparseL23check_matrix_ell_deviceILj256EdiEEvT1_S1_S1_PKT0_PKS1_21rocsparse_index_base_22rocsparse_matrix_type_20rocsparse_fill_mode_23rocsparse_storage_mode_P22rocsparse_data_status_.numbered_sgpr, 53
	.set _ZN9rocsparseL23check_matrix_ell_deviceILj256EdiEEvT1_S1_S1_PKT0_PKS1_21rocsparse_index_base_22rocsparse_matrix_type_20rocsparse_fill_mode_23rocsparse_storage_mode_P22rocsparse_data_status_.num_named_barrier, 0
	.set _ZN9rocsparseL23check_matrix_ell_deviceILj256EdiEEvT1_S1_S1_PKT0_PKS1_21rocsparse_index_base_22rocsparse_matrix_type_20rocsparse_fill_mode_23rocsparse_storage_mode_P22rocsparse_data_status_.private_seg_size, 0
	.set _ZN9rocsparseL23check_matrix_ell_deviceILj256EdiEEvT1_S1_S1_PKT0_PKS1_21rocsparse_index_base_22rocsparse_matrix_type_20rocsparse_fill_mode_23rocsparse_storage_mode_P22rocsparse_data_status_.uses_vcc, 1
	.set _ZN9rocsparseL23check_matrix_ell_deviceILj256EdiEEvT1_S1_S1_PKT0_PKS1_21rocsparse_index_base_22rocsparse_matrix_type_20rocsparse_fill_mode_23rocsparse_storage_mode_P22rocsparse_data_status_.uses_flat_scratch, 0
	.set _ZN9rocsparseL23check_matrix_ell_deviceILj256EdiEEvT1_S1_S1_PKT0_PKS1_21rocsparse_index_base_22rocsparse_matrix_type_20rocsparse_fill_mode_23rocsparse_storage_mode_P22rocsparse_data_status_.has_dyn_sized_stack, 0
	.set _ZN9rocsparseL23check_matrix_ell_deviceILj256EdiEEvT1_S1_S1_PKT0_PKS1_21rocsparse_index_base_22rocsparse_matrix_type_20rocsparse_fill_mode_23rocsparse_storage_mode_P22rocsparse_data_status_.has_recursion, 0
	.set _ZN9rocsparseL23check_matrix_ell_deviceILj256EdiEEvT1_S1_S1_PKT0_PKS1_21rocsparse_index_base_22rocsparse_matrix_type_20rocsparse_fill_mode_23rocsparse_storage_mode_P22rocsparse_data_status_.has_indirect_call, 0
	.section	.AMDGPU.csdata,"",@progbits
; Kernel info:
; codeLenInByte = 832
; TotalNumSgprs: 57
; NumVgprs: 10
; ScratchSize: 0
; MemoryBound: 0
; FloatMode: 240
; IeeeMode: 1
; LDSByteSize: 0 bytes/workgroup (compile time only)
; SGPRBlocks: 7
; VGPRBlocks: 2
; NumSGPRsForWavesPerEU: 57
; NumVGPRsForWavesPerEU: 10
; Occupancy: 10
; WaveLimiterHint : 0
; COMPUTE_PGM_RSRC2:SCRATCH_EN: 0
; COMPUTE_PGM_RSRC2:USER_SGPR: 6
; COMPUTE_PGM_RSRC2:TRAP_HANDLER: 0
; COMPUTE_PGM_RSRC2:TGID_X_EN: 1
; COMPUTE_PGM_RSRC2:TGID_Y_EN: 0
; COMPUTE_PGM_RSRC2:TGID_Z_EN: 0
; COMPUTE_PGM_RSRC2:TIDIG_COMP_CNT: 0
	.section	.text._ZN9rocsparseL23check_matrix_ell_deviceILj256E21rocsparse_complex_numIfEiEEvT1_S3_S3_PKT0_PKS3_21rocsparse_index_base_22rocsparse_matrix_type_20rocsparse_fill_mode_23rocsparse_storage_mode_P22rocsparse_data_status_,"axG",@progbits,_ZN9rocsparseL23check_matrix_ell_deviceILj256E21rocsparse_complex_numIfEiEEvT1_S3_S3_PKT0_PKS3_21rocsparse_index_base_22rocsparse_matrix_type_20rocsparse_fill_mode_23rocsparse_storage_mode_P22rocsparse_data_status_,comdat
	.globl	_ZN9rocsparseL23check_matrix_ell_deviceILj256E21rocsparse_complex_numIfEiEEvT1_S3_S3_PKT0_PKS3_21rocsparse_index_base_22rocsparse_matrix_type_20rocsparse_fill_mode_23rocsparse_storage_mode_P22rocsparse_data_status_ ; -- Begin function _ZN9rocsparseL23check_matrix_ell_deviceILj256E21rocsparse_complex_numIfEiEEvT1_S3_S3_PKT0_PKS3_21rocsparse_index_base_22rocsparse_matrix_type_20rocsparse_fill_mode_23rocsparse_storage_mode_P22rocsparse_data_status_
	.p2align	8
	.type	_ZN9rocsparseL23check_matrix_ell_deviceILj256E21rocsparse_complex_numIfEiEEvT1_S3_S3_PKT0_PKS3_21rocsparse_index_base_22rocsparse_matrix_type_20rocsparse_fill_mode_23rocsparse_storage_mode_P22rocsparse_data_status_,@function
_ZN9rocsparseL23check_matrix_ell_deviceILj256E21rocsparse_complex_numIfEiEEvT1_S3_S3_PKT0_PKS3_21rocsparse_index_base_22rocsparse_matrix_type_20rocsparse_fill_mode_23rocsparse_storage_mode_P22rocsparse_data_status_: ; @_ZN9rocsparseL23check_matrix_ell_deviceILj256E21rocsparse_complex_numIfEiEEvT1_S3_S3_PKT0_PKS3_21rocsparse_index_base_22rocsparse_matrix_type_20rocsparse_fill_mode_23rocsparse_storage_mode_P22rocsparse_data_status_
; %bb.0:
	s_load_dwordx4 s[8:11], s[4:5], 0x0
	v_lshl_or_b32 v2, s6, 8, v0
	s_waitcnt lgkmcnt(0)
	s_cmp_gt_i32 s10, 0
	v_cmp_gt_i32_e32 vcc, s8, v2
	s_cselect_b64 s[0:1], -1, 0
	s_and_b64 s[0:1], vcc, s[0:1]
	s_and_saveexec_b64 s[2:3], s[0:1]
	s_cbranch_execz .LBB2_27
; %bb.1:
	s_load_dwordx2 s[26:27], s[4:5], 0x18
	v_ashrrev_i32_e32 v3, 31, v2
	v_lshlrev_b64 v[4:5], 2, v[2:3]
	s_waitcnt lgkmcnt(0)
	v_mov_b32_e32 v1, s27
	v_add_co_u32_e32 v0, vcc, s26, v4
	v_addc_co_u32_e32 v1, vcc, v1, v5, vcc
	global_load_dword v6, v[0:1], off
	s_waitcnt vmcnt(0)
	v_cmp_ne_u32_e32 vcc, -1, v6
	s_and_b64 exec, exec, vcc
	s_cbranch_execz .LBB2_27
; %bb.2:
	s_load_dword s33, s[4:5], 0x20
	v_mov_b32_e32 v8, 4
	s_waitcnt lgkmcnt(0)
	v_subrev_u32_e32 v6, s33, v6
	v_cmp_lt_i32_e32 vcc, -1, v6
	v_cmp_gt_i32_e64 s[0:1], s9, v6
	s_and_b64 s[0:1], vcc, s[0:1]
	s_xor_b64 s[2:3], s[0:1], -1
	s_and_saveexec_b64 s[6:7], s[0:1]
	s_cbranch_execz .LBB2_25
; %bb.3:
	s_load_dwordx2 s[24:25], s[4:5], 0x10
	v_lshlrev_b64 v[2:3], 3, v[2:3]
	s_mov_b32 s0, 0x7f800000
	v_mov_b32_e32 v8, 1
	s_waitcnt lgkmcnt(0)
	v_mov_b32_e32 v7, s25
	v_add_co_u32_e32 v6, vcc, s24, v2
	v_addc_co_u32_e32 v7, vcc, v7, v3, vcc
	global_load_dwordx2 v[6:7], v[6:7], off
	s_waitcnt vmcnt(0)
	v_cmp_eq_f32_e32 vcc, s0, v6
	v_cmp_eq_f32_e64 s[0:1], s0, v7
	s_or_b64 s[12:13], vcc, s[0:1]
	s_xor_b64 s[0:1], s[12:13], -1
	s_and_saveexec_b64 s[14:15], s[0:1]
	s_cbranch_execz .LBB2_24
; %bb.4:
	v_cmp_o_f32_e32 vcc, v6, v7
	s_mov_b64 s[0:1], -1
	v_mov_b32_e32 v8, 2
	s_and_saveexec_b64 s[16:17], vcc
	s_cbranch_execz .LBB2_23
; %bb.5:
	s_cmp_lg_u32 s10, 1
	s_cbranch_scc0 .LBB2_20
; %bb.6:
	s_load_dword s0, s[4:5], 0x2c
	s_mov_b32 s18, 0
	s_mov_b64 s[28:29], 0
	s_mov_b32 s51, 0x7f800000
                                        ; implicit-def: $sgpr30_sgpr31
                                        ; implicit-def: $sgpr34_sgpr35
	s_waitcnt lgkmcnt(0)
	s_cmp_eq_u32 s0, 0
	s_cselect_b64 s[20:21], -1, 0
	s_cmp_lg_u32 s0, 0
	s_cselect_b64 s[22:23], -1, 0
	s_ashr_i32 s1, s8, 31
	s_mov_b32 s0, s8
	s_add_i32 s50, s10, -1
	s_lshl_b64 s[10:11], s[0:1], 3
	s_add_u32 s19, s24, s10
	s_addc_u32 s24, s25, s11
	v_mov_b32_e32 v6, s24
	v_add_co_u32_e32 v2, vcc, s19, v2
	v_addc_co_u32_e32 v3, vcc, v6, v3, vcc
	s_lshl_b64 s[24:25], s[0:1], 2
	v_add_co_u32_e32 v2, vcc, 4, v2
	s_add_u32 s0, s26, s24
	v_addc_co_u32_e32 v3, vcc, 0, v3, vcc
	s_addc_u32 s1, s27, s25
	v_mov_b32_e32 v6, s1
	v_add_co_u32_e32 v4, vcc, s0, v4
	v_addc_co_u32_e32 v5, vcc, v6, v5, vcc
                                        ; implicit-def: $sgpr26_sgpr27
	s_branch .LBB2_12
.LBB2_7:                                ;   in Loop: Header=BB2_12 Depth=1
	s_or_b64 exec, exec, s[44:45]
	v_mov_b32_e32 v8, s19
	s_and_b64 s[44:45], s[42:43], exec
	s_orn2_b64 s[42:43], s[46:47], exec
.LBB2_8:                                ;   in Loop: Header=BB2_12 Depth=1
	s_or_b64 exec, exec, s[40:41]
	s_and_b64 s[44:45], s[44:45], exec
	s_orn2_b64 s[40:41], s[42:43], exec
.LBB2_9:                                ;   in Loop: Header=BB2_12 Depth=1
	s_or_b64 exec, exec, s[0:1]
	s_and_b64 s[42:43], s[44:45], exec
	s_orn2_b64 s[0:1], s[40:41], exec
.LBB2_10:                               ;   in Loop: Header=BB2_12 Depth=1
	s_or_b64 exec, exec, s[38:39]
	s_andn2_b64 s[34:35], s[34:35], exec
	s_and_b64 s[38:39], s[42:43], exec
	s_andn2_b64 s[30:31], s[30:31], exec
	s_and_b64 s[0:1], s[0:1], exec
	s_or_b64 s[34:35], s[34:35], s[38:39]
	s_or_b64 s[30:31], s[30:31], s[0:1]
.LBB2_11:                               ;   in Loop: Header=BB2_12 Depth=1
	s_or_b64 exec, exec, s[36:37]
	s_xor_b64 s[0:1], s[34:35], -1
	s_and_b64 s[36:37], exec, s[30:31]
	s_or_b64 s[28:29], s[36:37], s[28:29]
	s_andn2_b64 s[26:27], s[26:27], exec
	s_and_b64 s[0:1], s[0:1], exec
	s_or_b64 s[26:27], s[26:27], s[0:1]
	s_andn2_b64 exec, exec, s[28:29]
	s_cbranch_execz .LBB2_21
.LBB2_12:                               ; =>This Inner Loop Header: Depth=1
	global_load_dword v9, v[4:5], off
	s_or_b64 s[34:35], s[34:35], exec
	s_or_b64 s[30:31], s[30:31], exec
                                        ; implicit-def: $vgpr8
	s_waitcnt vmcnt(0)
	v_cmp_ne_u32_e32 vcc, -1, v9
	s_and_saveexec_b64 s[36:37], vcc
	s_cbranch_execz .LBB2_11
; %bb.13:                               ;   in Loop: Header=BB2_12 Depth=1
	v_subrev_u32_e32 v6, s33, v9
	v_cmp_lt_i32_e32 vcc, -1, v6
	v_cmp_gt_i32_e64 s[0:1], s9, v6
	s_and_b64 s[40:41], vcc, s[0:1]
	s_mov_b64 s[0:1], -1
	v_mov_b32_e32 v8, 4
	s_mov_b64 s[42:43], 0
	s_and_saveexec_b64 s[38:39], s[40:41]
	s_cbranch_execz .LBB2_10
; %bb.14:                               ;   in Loop: Header=BB2_12 Depth=1
	global_load_dwordx2 v[6:7], v[2:3], off offset:-4
	s_mov_b64 s[40:41], -1
	v_mov_b32_e32 v8, 1
	s_mov_b64 s[44:45], 0
	s_waitcnt vmcnt(0)
	v_cmp_neq_f32_e32 vcc, s51, v6
	v_cmp_neq_f32_e64 s[0:1], s51, v7
	s_and_b64 s[42:43], vcc, s[0:1]
	s_and_saveexec_b64 s[0:1], s[42:43]
	s_cbranch_execz .LBB2_9
; %bb.15:                               ;   in Loop: Header=BB2_12 Depth=1
	v_cmp_o_f32_e32 vcc, v6, v7
	s_mov_b64 s[42:43], -1
	v_mov_b32_e32 v8, 2
	s_and_saveexec_b64 s[40:41], vcc
	s_cbranch_execz .LBB2_8
; %bb.16:                               ;   in Loop: Header=BB2_12 Depth=1
	s_mov_b32 s19, 2
	s_and_b64 vcc, exec, s[20:21]
	s_mov_b64 s[48:49], s[22:23]
	s_cbranch_vccz .LBB2_18
; %bb.17:                               ;   in Loop: Header=BB2_12 Depth=1
	s_ashr_i32 s19, s18, 31
	s_lshl_b64 s[42:43], s[18:19], 2
	v_mov_b32_e32 v7, s43
	v_add_co_u32_e32 v6, vcc, s42, v0
	v_addc_co_u32_e32 v7, vcc, v1, v7, vcc
	global_load_dword v6, v[6:7], off
	s_andn2_b64 s[42:43], s[22:23], exec
	s_mov_b32 s19, 6
	s_waitcnt vmcnt(0)
	v_cmp_lt_i32_e32 vcc, v6, v9
	s_and_b64 s[44:45], vcc, exec
	s_or_b64 s[48:49], s[42:43], s[44:45]
.LBB2_18:                               ;   in Loop: Header=BB2_12 Depth=1
	s_mov_b64 s[46:47], -1
	s_mov_b64 s[42:43], 0
	s_and_saveexec_b64 s[44:45], s[48:49]
	s_cbranch_execz .LBB2_7
; %bb.19:                               ;   in Loop: Header=BB2_12 Depth=1
	s_add_i32 s50, s50, -1
	v_mov_b32_e32 v6, s11
	v_add_co_u32_e32 v2, vcc, s10, v2
	s_add_i32 s18, s18, s8
	v_addc_co_u32_e32 v3, vcc, v3, v6, vcc
	s_cmp_eq_u32 s50, 0
	v_mov_b32_e32 v6, s25
	v_add_co_u32_e32 v4, vcc, s24, v4
	s_cselect_b64 s[46:47], -1, 0
	s_mov_b64 s[42:43], exec
	v_addc_co_u32_e32 v5, vcc, v5, v6, vcc
	s_orn2_b64 s[46:47], s[46:47], exec
	s_branch .LBB2_7
.LBB2_20:
	s_mov_b64 s[26:27], 0
	v_mov_b32_e32 v8, 2
	s_branch .LBB2_22
.LBB2_21:
	s_or_b64 exec, exec, s[28:29]
.LBB2_22:
	s_orn2_b64 s[0:1], s[26:27], exec
.LBB2_23:
	s_or_b64 exec, exec, s[16:17]
	s_andn2_b64 s[8:9], s[12:13], exec
	s_and_b64 s[0:1], s[0:1], exec
	s_or_b64 s[12:13], s[8:9], s[0:1]
.LBB2_24:
	s_or_b64 exec, exec, s[14:15]
	s_andn2_b64 s[0:1], s[2:3], exec
	s_and_b64 s[2:3], s[12:13], exec
	s_or_b64 s[2:3], s[0:1], s[2:3]
.LBB2_25:
	s_or_b64 exec, exec, s[6:7]
	s_and_b64 exec, exec, s[2:3]
	s_cbranch_execz .LBB2_27
; %bb.26:
	s_load_dwordx2 s[0:1], s[4:5], 0x30
	v_mov_b32_e32 v0, 0
	s_waitcnt lgkmcnt(0)
	global_store_dword v0, v8, s[0:1]
.LBB2_27:
	s_endpgm
	.section	.rodata,"a",@progbits
	.p2align	6, 0x0
	.amdhsa_kernel _ZN9rocsparseL23check_matrix_ell_deviceILj256E21rocsparse_complex_numIfEiEEvT1_S3_S3_PKT0_PKS3_21rocsparse_index_base_22rocsparse_matrix_type_20rocsparse_fill_mode_23rocsparse_storage_mode_P22rocsparse_data_status_
		.amdhsa_group_segment_fixed_size 0
		.amdhsa_private_segment_fixed_size 0
		.amdhsa_kernarg_size 56
		.amdhsa_user_sgpr_count 6
		.amdhsa_user_sgpr_private_segment_buffer 1
		.amdhsa_user_sgpr_dispatch_ptr 0
		.amdhsa_user_sgpr_queue_ptr 0
		.amdhsa_user_sgpr_kernarg_segment_ptr 1
		.amdhsa_user_sgpr_dispatch_id 0
		.amdhsa_user_sgpr_flat_scratch_init 0
		.amdhsa_user_sgpr_private_segment_size 0
		.amdhsa_uses_dynamic_stack 0
		.amdhsa_system_sgpr_private_segment_wavefront_offset 0
		.amdhsa_system_sgpr_workgroup_id_x 1
		.amdhsa_system_sgpr_workgroup_id_y 0
		.amdhsa_system_sgpr_workgroup_id_z 0
		.amdhsa_system_sgpr_workgroup_info 0
		.amdhsa_system_vgpr_workitem_id 0
		.amdhsa_next_free_vgpr 10
		.amdhsa_next_free_sgpr 52
		.amdhsa_reserve_vcc 1
		.amdhsa_reserve_flat_scratch 0
		.amdhsa_float_round_mode_32 0
		.amdhsa_float_round_mode_16_64 0
		.amdhsa_float_denorm_mode_32 3
		.amdhsa_float_denorm_mode_16_64 3
		.amdhsa_dx10_clamp 1
		.amdhsa_ieee_mode 1
		.amdhsa_fp16_overflow 0
		.amdhsa_exception_fp_ieee_invalid_op 0
		.amdhsa_exception_fp_denorm_src 0
		.amdhsa_exception_fp_ieee_div_zero 0
		.amdhsa_exception_fp_ieee_overflow 0
		.amdhsa_exception_fp_ieee_underflow 0
		.amdhsa_exception_fp_ieee_inexact 0
		.amdhsa_exception_int_div_zero 0
	.end_amdhsa_kernel
	.section	.text._ZN9rocsparseL23check_matrix_ell_deviceILj256E21rocsparse_complex_numIfEiEEvT1_S3_S3_PKT0_PKS3_21rocsparse_index_base_22rocsparse_matrix_type_20rocsparse_fill_mode_23rocsparse_storage_mode_P22rocsparse_data_status_,"axG",@progbits,_ZN9rocsparseL23check_matrix_ell_deviceILj256E21rocsparse_complex_numIfEiEEvT1_S3_S3_PKT0_PKS3_21rocsparse_index_base_22rocsparse_matrix_type_20rocsparse_fill_mode_23rocsparse_storage_mode_P22rocsparse_data_status_,comdat
.Lfunc_end2:
	.size	_ZN9rocsparseL23check_matrix_ell_deviceILj256E21rocsparse_complex_numIfEiEEvT1_S3_S3_PKT0_PKS3_21rocsparse_index_base_22rocsparse_matrix_type_20rocsparse_fill_mode_23rocsparse_storage_mode_P22rocsparse_data_status_, .Lfunc_end2-_ZN9rocsparseL23check_matrix_ell_deviceILj256E21rocsparse_complex_numIfEiEEvT1_S3_S3_PKT0_PKS3_21rocsparse_index_base_22rocsparse_matrix_type_20rocsparse_fill_mode_23rocsparse_storage_mode_P22rocsparse_data_status_
                                        ; -- End function
	.set _ZN9rocsparseL23check_matrix_ell_deviceILj256E21rocsparse_complex_numIfEiEEvT1_S3_S3_PKT0_PKS3_21rocsparse_index_base_22rocsparse_matrix_type_20rocsparse_fill_mode_23rocsparse_storage_mode_P22rocsparse_data_status_.num_vgpr, 10
	.set _ZN9rocsparseL23check_matrix_ell_deviceILj256E21rocsparse_complex_numIfEiEEvT1_S3_S3_PKT0_PKS3_21rocsparse_index_base_22rocsparse_matrix_type_20rocsparse_fill_mode_23rocsparse_storage_mode_P22rocsparse_data_status_.num_agpr, 0
	.set _ZN9rocsparseL23check_matrix_ell_deviceILj256E21rocsparse_complex_numIfEiEEvT1_S3_S3_PKT0_PKS3_21rocsparse_index_base_22rocsparse_matrix_type_20rocsparse_fill_mode_23rocsparse_storage_mode_P22rocsparse_data_status_.numbered_sgpr, 52
	.set _ZN9rocsparseL23check_matrix_ell_deviceILj256E21rocsparse_complex_numIfEiEEvT1_S3_S3_PKT0_PKS3_21rocsparse_index_base_22rocsparse_matrix_type_20rocsparse_fill_mode_23rocsparse_storage_mode_P22rocsparse_data_status_.num_named_barrier, 0
	.set _ZN9rocsparseL23check_matrix_ell_deviceILj256E21rocsparse_complex_numIfEiEEvT1_S3_S3_PKT0_PKS3_21rocsparse_index_base_22rocsparse_matrix_type_20rocsparse_fill_mode_23rocsparse_storage_mode_P22rocsparse_data_status_.private_seg_size, 0
	.set _ZN9rocsparseL23check_matrix_ell_deviceILj256E21rocsparse_complex_numIfEiEEvT1_S3_S3_PKT0_PKS3_21rocsparse_index_base_22rocsparse_matrix_type_20rocsparse_fill_mode_23rocsparse_storage_mode_P22rocsparse_data_status_.uses_vcc, 1
	.set _ZN9rocsparseL23check_matrix_ell_deviceILj256E21rocsparse_complex_numIfEiEEvT1_S3_S3_PKT0_PKS3_21rocsparse_index_base_22rocsparse_matrix_type_20rocsparse_fill_mode_23rocsparse_storage_mode_P22rocsparse_data_status_.uses_flat_scratch, 0
	.set _ZN9rocsparseL23check_matrix_ell_deviceILj256E21rocsparse_complex_numIfEiEEvT1_S3_S3_PKT0_PKS3_21rocsparse_index_base_22rocsparse_matrix_type_20rocsparse_fill_mode_23rocsparse_storage_mode_P22rocsparse_data_status_.has_dyn_sized_stack, 0
	.set _ZN9rocsparseL23check_matrix_ell_deviceILj256E21rocsparse_complex_numIfEiEEvT1_S3_S3_PKT0_PKS3_21rocsparse_index_base_22rocsparse_matrix_type_20rocsparse_fill_mode_23rocsparse_storage_mode_P22rocsparse_data_status_.has_recursion, 0
	.set _ZN9rocsparseL23check_matrix_ell_deviceILj256E21rocsparse_complex_numIfEiEEvT1_S3_S3_PKT0_PKS3_21rocsparse_index_base_22rocsparse_matrix_type_20rocsparse_fill_mode_23rocsparse_storage_mode_P22rocsparse_data_status_.has_indirect_call, 0
	.section	.AMDGPU.csdata,"",@progbits
; Kernel info:
; codeLenInByte = 852
; TotalNumSgprs: 56
; NumVgprs: 10
; ScratchSize: 0
; MemoryBound: 0
; FloatMode: 240
; IeeeMode: 1
; LDSByteSize: 0 bytes/workgroup (compile time only)
; SGPRBlocks: 6
; VGPRBlocks: 2
; NumSGPRsForWavesPerEU: 56
; NumVGPRsForWavesPerEU: 10
; Occupancy: 10
; WaveLimiterHint : 0
; COMPUTE_PGM_RSRC2:SCRATCH_EN: 0
; COMPUTE_PGM_RSRC2:USER_SGPR: 6
; COMPUTE_PGM_RSRC2:TRAP_HANDLER: 0
; COMPUTE_PGM_RSRC2:TGID_X_EN: 1
; COMPUTE_PGM_RSRC2:TGID_Y_EN: 0
; COMPUTE_PGM_RSRC2:TGID_Z_EN: 0
; COMPUTE_PGM_RSRC2:TIDIG_COMP_CNT: 0
	.section	.text._ZN9rocsparseL23check_matrix_ell_deviceILj256E21rocsparse_complex_numIdEiEEvT1_S3_S3_PKT0_PKS3_21rocsparse_index_base_22rocsparse_matrix_type_20rocsparse_fill_mode_23rocsparse_storage_mode_P22rocsparse_data_status_,"axG",@progbits,_ZN9rocsparseL23check_matrix_ell_deviceILj256E21rocsparse_complex_numIdEiEEvT1_S3_S3_PKT0_PKS3_21rocsparse_index_base_22rocsparse_matrix_type_20rocsparse_fill_mode_23rocsparse_storage_mode_P22rocsparse_data_status_,comdat
	.globl	_ZN9rocsparseL23check_matrix_ell_deviceILj256E21rocsparse_complex_numIdEiEEvT1_S3_S3_PKT0_PKS3_21rocsparse_index_base_22rocsparse_matrix_type_20rocsparse_fill_mode_23rocsparse_storage_mode_P22rocsparse_data_status_ ; -- Begin function _ZN9rocsparseL23check_matrix_ell_deviceILj256E21rocsparse_complex_numIdEiEEvT1_S3_S3_PKT0_PKS3_21rocsparse_index_base_22rocsparse_matrix_type_20rocsparse_fill_mode_23rocsparse_storage_mode_P22rocsparse_data_status_
	.p2align	8
	.type	_ZN9rocsparseL23check_matrix_ell_deviceILj256E21rocsparse_complex_numIdEiEEvT1_S3_S3_PKT0_PKS3_21rocsparse_index_base_22rocsparse_matrix_type_20rocsparse_fill_mode_23rocsparse_storage_mode_P22rocsparse_data_status_,@function
_ZN9rocsparseL23check_matrix_ell_deviceILj256E21rocsparse_complex_numIdEiEEvT1_S3_S3_PKT0_PKS3_21rocsparse_index_base_22rocsparse_matrix_type_20rocsparse_fill_mode_23rocsparse_storage_mode_P22rocsparse_data_status_: ; @_ZN9rocsparseL23check_matrix_ell_deviceILj256E21rocsparse_complex_numIdEiEEvT1_S3_S3_PKT0_PKS3_21rocsparse_index_base_22rocsparse_matrix_type_20rocsparse_fill_mode_23rocsparse_storage_mode_P22rocsparse_data_status_
; %bb.0:
	s_load_dwordx4 s[8:11], s[4:5], 0x0
	v_lshl_or_b32 v0, s6, 8, v0
	s_waitcnt lgkmcnt(0)
	s_cmp_gt_i32 s10, 0
	v_cmp_gt_i32_e32 vcc, s8, v0
	s_cselect_b64 s[0:1], -1, 0
	s_and_b64 s[0:1], vcc, s[0:1]
	s_and_saveexec_b64 s[2:3], s[0:1]
	s_cbranch_execz .LBB3_27
; %bb.1:
	s_load_dwordx2 s[26:27], s[4:5], 0x18
	v_ashrrev_i32_e32 v1, 31, v0
	v_lshlrev_b64 v[8:9], 2, v[0:1]
	s_waitcnt lgkmcnt(0)
	v_mov_b32_e32 v2, s27
	v_add_co_u32_e32 v4, vcc, s26, v8
	v_addc_co_u32_e32 v5, vcc, v2, v9, vcc
	global_load_dword v2, v[4:5], off
	s_waitcnt vmcnt(0)
	v_cmp_ne_u32_e32 vcc, -1, v2
	s_and_b64 exec, exec, vcc
	s_cbranch_execz .LBB3_27
; %bb.2:
	s_load_dword s33, s[4:5], 0x20
	v_mov_b32_e32 v10, 4
	s_waitcnt lgkmcnt(0)
	v_subrev_u32_e32 v2, s33, v2
	v_cmp_lt_i32_e32 vcc, -1, v2
	v_cmp_gt_i32_e64 s[0:1], s9, v2
	s_and_b64 s[0:1], vcc, s[0:1]
	s_xor_b64 s[2:3], s[0:1], -1
	s_and_saveexec_b64 s[6:7], s[0:1]
	s_cbranch_execz .LBB3_25
; %bb.3:
	s_load_dwordx2 s[24:25], s[4:5], 0x10
	v_lshlrev_b64 v[6:7], 4, v[0:1]
	s_mov_b32 s0, 0
	s_mov_b32 s1, 0x7ff00000
	v_mov_b32_e32 v10, 1
	s_waitcnt lgkmcnt(0)
	v_mov_b32_e32 v1, s25
	v_add_co_u32_e32 v0, vcc, s24, v6
	v_addc_co_u32_e32 v1, vcc, v1, v7, vcc
	global_load_dwordx4 v[0:3], v[0:1], off
	s_waitcnt vmcnt(0)
	v_cmp_eq_f64_e32 vcc, s[0:1], v[0:1]
	v_cmp_eq_f64_e64 s[0:1], s[0:1], v[2:3]
	s_or_b64 s[12:13], vcc, s[0:1]
	s_xor_b64 s[0:1], s[12:13], -1
	s_and_saveexec_b64 s[14:15], s[0:1]
	s_cbranch_execz .LBB3_24
; %bb.4:
	v_cmp_o_f64_e32 vcc, v[0:1], v[2:3]
	s_mov_b64 s[0:1], -1
	v_mov_b32_e32 v10, 2
	s_and_saveexec_b64 s[16:17], vcc
	s_cbranch_execz .LBB3_23
; %bb.5:
	s_cmp_lg_u32 s10, 1
	s_cbranch_scc0 .LBB3_20
; %bb.6:
	s_load_dword s0, s[4:5], 0x2c
	s_mov_b32 s30, 0
	s_mov_b32 s18, 0
	;; [unrolled: 1-line block ×3, first 2 shown]
	s_mov_b64 s[28:29], 0
	s_waitcnt lgkmcnt(0)
	s_cmp_eq_u32 s0, 0
	s_cselect_b64 s[20:21], -1, 0
	s_cmp_lg_u32 s0, 0
	s_cselect_b64 s[22:23], -1, 0
	s_ashr_i32 s1, s8, 31
	s_mov_b32 s0, s8
	s_add_i32 s52, s10, -1
	s_lshl_b64 s[10:11], s[0:1], 4
	s_add_u32 s19, s24, s10
	s_addc_u32 s24, s25, s11
	v_mov_b32_e32 v0, s24
	v_add_co_u32_e32 v1, vcc, s19, v6
	v_addc_co_u32_e32 v0, vcc, v0, v7, vcc
	s_lshl_b64 s[24:25], s[0:1], 2
	v_add_co_u32_e32 v6, vcc, 8, v1
	s_add_u32 s0, s26, s24
	v_addc_co_u32_e32 v7, vcc, 0, v0, vcc
	s_addc_u32 s1, s27, s25
	v_mov_b32_e32 v0, s1
	v_add_co_u32_e32 v8, vcc, s0, v8
	v_addc_co_u32_e32 v9, vcc, v0, v9, vcc
                                        ; implicit-def: $sgpr26_sgpr27
                                        ; implicit-def: $sgpr34_sgpr35
                                        ; implicit-def: $sgpr36_sgpr37
	s_branch .LBB3_12
.LBB3_7:                                ;   in Loop: Header=BB3_12 Depth=1
	s_or_b64 exec, exec, s[46:47]
	v_mov_b32_e32 v10, s19
	s_and_b64 s[46:47], s[44:45], exec
	s_orn2_b64 s[44:45], s[48:49], exec
.LBB3_8:                                ;   in Loop: Header=BB3_12 Depth=1
	s_or_b64 exec, exec, s[42:43]
	s_and_b64 s[46:47], s[46:47], exec
	s_orn2_b64 s[42:43], s[44:45], exec
.LBB3_9:                                ;   in Loop: Header=BB3_12 Depth=1
	s_or_b64 exec, exec, s[0:1]
	s_and_b64 s[44:45], s[46:47], exec
	s_orn2_b64 s[0:1], s[42:43], exec
.LBB3_10:                               ;   in Loop: Header=BB3_12 Depth=1
	s_or_b64 exec, exec, s[40:41]
	s_andn2_b64 s[36:37], s[36:37], exec
	s_and_b64 s[40:41], s[44:45], exec
	s_andn2_b64 s[34:35], s[34:35], exec
	s_and_b64 s[0:1], s[0:1], exec
	s_or_b64 s[36:37], s[36:37], s[40:41]
	s_or_b64 s[34:35], s[34:35], s[0:1]
.LBB3_11:                               ;   in Loop: Header=BB3_12 Depth=1
	s_or_b64 exec, exec, s[38:39]
	s_xor_b64 s[0:1], s[36:37], -1
	s_and_b64 s[38:39], exec, s[34:35]
	s_or_b64 s[28:29], s[38:39], s[28:29]
	s_andn2_b64 s[26:27], s[26:27], exec
	s_and_b64 s[0:1], s[0:1], exec
	s_or_b64 s[26:27], s[26:27], s[0:1]
	s_andn2_b64 exec, exec, s[28:29]
	s_cbranch_execz .LBB3_21
.LBB3_12:                               ; =>This Inner Loop Header: Depth=1
	global_load_dword v11, v[8:9], off
	s_or_b64 s[36:37], s[36:37], exec
	s_or_b64 s[34:35], s[34:35], exec
                                        ; implicit-def: $vgpr10
	s_waitcnt vmcnt(0)
	v_cmp_ne_u32_e32 vcc, -1, v11
	s_and_saveexec_b64 s[38:39], vcc
	s_cbranch_execz .LBB3_11
; %bb.13:                               ;   in Loop: Header=BB3_12 Depth=1
	v_subrev_u32_e32 v0, s33, v11
	v_cmp_lt_i32_e32 vcc, -1, v0
	v_cmp_gt_i32_e64 s[0:1], s9, v0
	s_and_b64 s[42:43], vcc, s[0:1]
	s_mov_b64 s[0:1], -1
	v_mov_b32_e32 v10, 4
	s_mov_b64 s[44:45], 0
	s_and_saveexec_b64 s[40:41], s[42:43]
	s_cbranch_execz .LBB3_10
; %bb.14:                               ;   in Loop: Header=BB3_12 Depth=1
	global_load_dwordx4 v[0:3], v[6:7], off offset:-8
	s_mov_b64 s[42:43], -1
	v_mov_b32_e32 v10, 1
	s_mov_b64 s[46:47], 0
	s_waitcnt vmcnt(0)
	v_cmp_neq_f64_e32 vcc, s[30:31], v[0:1]
	v_cmp_neq_f64_e64 s[0:1], s[30:31], v[2:3]
	s_and_b64 s[44:45], vcc, s[0:1]
	s_and_saveexec_b64 s[0:1], s[44:45]
	s_cbranch_execz .LBB3_9
; %bb.15:                               ;   in Loop: Header=BB3_12 Depth=1
	v_cmp_o_f64_e32 vcc, v[0:1], v[2:3]
	s_mov_b64 s[44:45], -1
	v_mov_b32_e32 v10, 2
	s_and_saveexec_b64 s[42:43], vcc
	s_cbranch_execz .LBB3_8
; %bb.16:                               ;   in Loop: Header=BB3_12 Depth=1
	s_mov_b32 s19, 2
	s_and_b64 vcc, exec, s[20:21]
	s_mov_b64 s[50:51], s[22:23]
	s_cbranch_vccz .LBB3_18
; %bb.17:                               ;   in Loop: Header=BB3_12 Depth=1
	s_ashr_i32 s19, s18, 31
	s_lshl_b64 s[44:45], s[18:19], 2
	v_mov_b32_e32 v1, s45
	v_add_co_u32_e32 v0, vcc, s44, v4
	v_addc_co_u32_e32 v1, vcc, v5, v1, vcc
	global_load_dword v0, v[0:1], off
	s_andn2_b64 s[44:45], s[22:23], exec
	s_mov_b32 s19, 6
	s_waitcnt vmcnt(0)
	v_cmp_lt_i32_e32 vcc, v0, v11
	s_and_b64 s[46:47], vcc, exec
	s_or_b64 s[50:51], s[44:45], s[46:47]
.LBB3_18:                               ;   in Loop: Header=BB3_12 Depth=1
	s_mov_b64 s[48:49], -1
	s_mov_b64 s[44:45], 0
	s_and_saveexec_b64 s[46:47], s[50:51]
	s_cbranch_execz .LBB3_7
; %bb.19:                               ;   in Loop: Header=BB3_12 Depth=1
	s_add_i32 s52, s52, -1
	v_mov_b32_e32 v0, s11
	v_add_co_u32_e32 v6, vcc, s10, v6
	s_add_i32 s18, s18, s8
	v_addc_co_u32_e32 v7, vcc, v7, v0, vcc
	s_cmp_eq_u32 s52, 0
	v_mov_b32_e32 v0, s25
	v_add_co_u32_e32 v8, vcc, s24, v8
	s_cselect_b64 s[48:49], -1, 0
	s_mov_b64 s[44:45], exec
	v_addc_co_u32_e32 v9, vcc, v9, v0, vcc
	s_orn2_b64 s[48:49], s[48:49], exec
	s_branch .LBB3_7
.LBB3_20:
	s_mov_b64 s[26:27], 0
	v_mov_b32_e32 v10, 2
	s_branch .LBB3_22
.LBB3_21:
	s_or_b64 exec, exec, s[28:29]
.LBB3_22:
	s_orn2_b64 s[0:1], s[26:27], exec
.LBB3_23:
	s_or_b64 exec, exec, s[16:17]
	s_andn2_b64 s[8:9], s[12:13], exec
	s_and_b64 s[0:1], s[0:1], exec
	s_or_b64 s[12:13], s[8:9], s[0:1]
.LBB3_24:
	s_or_b64 exec, exec, s[14:15]
	s_andn2_b64 s[0:1], s[2:3], exec
	s_and_b64 s[2:3], s[12:13], exec
	s_or_b64 s[2:3], s[0:1], s[2:3]
.LBB3_25:
	s_or_b64 exec, exec, s[6:7]
	s_and_b64 exec, exec, s[2:3]
	s_cbranch_execz .LBB3_27
; %bb.26:
	s_load_dwordx2 s[0:1], s[4:5], 0x30
	v_mov_b32_e32 v0, 0
	s_waitcnt lgkmcnt(0)
	global_store_dword v0, v10, s[0:1]
.LBB3_27:
	s_endpgm
	.section	.rodata,"a",@progbits
	.p2align	6, 0x0
	.amdhsa_kernel _ZN9rocsparseL23check_matrix_ell_deviceILj256E21rocsparse_complex_numIdEiEEvT1_S3_S3_PKT0_PKS3_21rocsparse_index_base_22rocsparse_matrix_type_20rocsparse_fill_mode_23rocsparse_storage_mode_P22rocsparse_data_status_
		.amdhsa_group_segment_fixed_size 0
		.amdhsa_private_segment_fixed_size 0
		.amdhsa_kernarg_size 56
		.amdhsa_user_sgpr_count 6
		.amdhsa_user_sgpr_private_segment_buffer 1
		.amdhsa_user_sgpr_dispatch_ptr 0
		.amdhsa_user_sgpr_queue_ptr 0
		.amdhsa_user_sgpr_kernarg_segment_ptr 1
		.amdhsa_user_sgpr_dispatch_id 0
		.amdhsa_user_sgpr_flat_scratch_init 0
		.amdhsa_user_sgpr_private_segment_size 0
		.amdhsa_uses_dynamic_stack 0
		.amdhsa_system_sgpr_private_segment_wavefront_offset 0
		.amdhsa_system_sgpr_workgroup_id_x 1
		.amdhsa_system_sgpr_workgroup_id_y 0
		.amdhsa_system_sgpr_workgroup_id_z 0
		.amdhsa_system_sgpr_workgroup_info 0
		.amdhsa_system_vgpr_workitem_id 0
		.amdhsa_next_free_vgpr 12
		.amdhsa_next_free_sgpr 53
		.amdhsa_reserve_vcc 1
		.amdhsa_reserve_flat_scratch 0
		.amdhsa_float_round_mode_32 0
		.amdhsa_float_round_mode_16_64 0
		.amdhsa_float_denorm_mode_32 3
		.amdhsa_float_denorm_mode_16_64 3
		.amdhsa_dx10_clamp 1
		.amdhsa_ieee_mode 1
		.amdhsa_fp16_overflow 0
		.amdhsa_exception_fp_ieee_invalid_op 0
		.amdhsa_exception_fp_denorm_src 0
		.amdhsa_exception_fp_ieee_div_zero 0
		.amdhsa_exception_fp_ieee_overflow 0
		.amdhsa_exception_fp_ieee_underflow 0
		.amdhsa_exception_fp_ieee_inexact 0
		.amdhsa_exception_int_div_zero 0
	.end_amdhsa_kernel
	.section	.text._ZN9rocsparseL23check_matrix_ell_deviceILj256E21rocsparse_complex_numIdEiEEvT1_S3_S3_PKT0_PKS3_21rocsparse_index_base_22rocsparse_matrix_type_20rocsparse_fill_mode_23rocsparse_storage_mode_P22rocsparse_data_status_,"axG",@progbits,_ZN9rocsparseL23check_matrix_ell_deviceILj256E21rocsparse_complex_numIdEiEEvT1_S3_S3_PKT0_PKS3_21rocsparse_index_base_22rocsparse_matrix_type_20rocsparse_fill_mode_23rocsparse_storage_mode_P22rocsparse_data_status_,comdat
.Lfunc_end3:
	.size	_ZN9rocsparseL23check_matrix_ell_deviceILj256E21rocsparse_complex_numIdEiEEvT1_S3_S3_PKT0_PKS3_21rocsparse_index_base_22rocsparse_matrix_type_20rocsparse_fill_mode_23rocsparse_storage_mode_P22rocsparse_data_status_, .Lfunc_end3-_ZN9rocsparseL23check_matrix_ell_deviceILj256E21rocsparse_complex_numIdEiEEvT1_S3_S3_PKT0_PKS3_21rocsparse_index_base_22rocsparse_matrix_type_20rocsparse_fill_mode_23rocsparse_storage_mode_P22rocsparse_data_status_
                                        ; -- End function
	.set _ZN9rocsparseL23check_matrix_ell_deviceILj256E21rocsparse_complex_numIdEiEEvT1_S3_S3_PKT0_PKS3_21rocsparse_index_base_22rocsparse_matrix_type_20rocsparse_fill_mode_23rocsparse_storage_mode_P22rocsparse_data_status_.num_vgpr, 12
	.set _ZN9rocsparseL23check_matrix_ell_deviceILj256E21rocsparse_complex_numIdEiEEvT1_S3_S3_PKT0_PKS3_21rocsparse_index_base_22rocsparse_matrix_type_20rocsparse_fill_mode_23rocsparse_storage_mode_P22rocsparse_data_status_.num_agpr, 0
	.set _ZN9rocsparseL23check_matrix_ell_deviceILj256E21rocsparse_complex_numIdEiEEvT1_S3_S3_PKT0_PKS3_21rocsparse_index_base_22rocsparse_matrix_type_20rocsparse_fill_mode_23rocsparse_storage_mode_P22rocsparse_data_status_.numbered_sgpr, 53
	.set _ZN9rocsparseL23check_matrix_ell_deviceILj256E21rocsparse_complex_numIdEiEEvT1_S3_S3_PKT0_PKS3_21rocsparse_index_base_22rocsparse_matrix_type_20rocsparse_fill_mode_23rocsparse_storage_mode_P22rocsparse_data_status_.num_named_barrier, 0
	.set _ZN9rocsparseL23check_matrix_ell_deviceILj256E21rocsparse_complex_numIdEiEEvT1_S3_S3_PKT0_PKS3_21rocsparse_index_base_22rocsparse_matrix_type_20rocsparse_fill_mode_23rocsparse_storage_mode_P22rocsparse_data_status_.private_seg_size, 0
	.set _ZN9rocsparseL23check_matrix_ell_deviceILj256E21rocsparse_complex_numIdEiEEvT1_S3_S3_PKT0_PKS3_21rocsparse_index_base_22rocsparse_matrix_type_20rocsparse_fill_mode_23rocsparse_storage_mode_P22rocsparse_data_status_.uses_vcc, 1
	.set _ZN9rocsparseL23check_matrix_ell_deviceILj256E21rocsparse_complex_numIdEiEEvT1_S3_S3_PKT0_PKS3_21rocsparse_index_base_22rocsparse_matrix_type_20rocsparse_fill_mode_23rocsparse_storage_mode_P22rocsparse_data_status_.uses_flat_scratch, 0
	.set _ZN9rocsparseL23check_matrix_ell_deviceILj256E21rocsparse_complex_numIdEiEEvT1_S3_S3_PKT0_PKS3_21rocsparse_index_base_22rocsparse_matrix_type_20rocsparse_fill_mode_23rocsparse_storage_mode_P22rocsparse_data_status_.has_dyn_sized_stack, 0
	.set _ZN9rocsparseL23check_matrix_ell_deviceILj256E21rocsparse_complex_numIdEiEEvT1_S3_S3_PKT0_PKS3_21rocsparse_index_base_22rocsparse_matrix_type_20rocsparse_fill_mode_23rocsparse_storage_mode_P22rocsparse_data_status_.has_recursion, 0
	.set _ZN9rocsparseL23check_matrix_ell_deviceILj256E21rocsparse_complex_numIdEiEEvT1_S3_S3_PKT0_PKS3_21rocsparse_index_base_22rocsparse_matrix_type_20rocsparse_fill_mode_23rocsparse_storage_mode_P22rocsparse_data_status_.has_indirect_call, 0
	.section	.AMDGPU.csdata,"",@progbits
; Kernel info:
; codeLenInByte = 860
; TotalNumSgprs: 57
; NumVgprs: 12
; ScratchSize: 0
; MemoryBound: 0
; FloatMode: 240
; IeeeMode: 1
; LDSByteSize: 0 bytes/workgroup (compile time only)
; SGPRBlocks: 7
; VGPRBlocks: 2
; NumSGPRsForWavesPerEU: 57
; NumVGPRsForWavesPerEU: 12
; Occupancy: 10
; WaveLimiterHint : 0
; COMPUTE_PGM_RSRC2:SCRATCH_EN: 0
; COMPUTE_PGM_RSRC2:USER_SGPR: 6
; COMPUTE_PGM_RSRC2:TRAP_HANDLER: 0
; COMPUTE_PGM_RSRC2:TGID_X_EN: 1
; COMPUTE_PGM_RSRC2:TGID_Y_EN: 0
; COMPUTE_PGM_RSRC2:TGID_Z_EN: 0
; COMPUTE_PGM_RSRC2:TIDIG_COMP_CNT: 0
	.section	.text._ZN9rocsparseL23check_matrix_ell_deviceILj256EflEEvT1_S1_S1_PKT0_PKS1_21rocsparse_index_base_22rocsparse_matrix_type_20rocsparse_fill_mode_23rocsparse_storage_mode_P22rocsparse_data_status_,"axG",@progbits,_ZN9rocsparseL23check_matrix_ell_deviceILj256EflEEvT1_S1_S1_PKT0_PKS1_21rocsparse_index_base_22rocsparse_matrix_type_20rocsparse_fill_mode_23rocsparse_storage_mode_P22rocsparse_data_status_,comdat
	.globl	_ZN9rocsparseL23check_matrix_ell_deviceILj256EflEEvT1_S1_S1_PKT0_PKS1_21rocsparse_index_base_22rocsparse_matrix_type_20rocsparse_fill_mode_23rocsparse_storage_mode_P22rocsparse_data_status_ ; -- Begin function _ZN9rocsparseL23check_matrix_ell_deviceILj256EflEEvT1_S1_S1_PKT0_PKS1_21rocsparse_index_base_22rocsparse_matrix_type_20rocsparse_fill_mode_23rocsparse_storage_mode_P22rocsparse_data_status_
	.p2align	8
	.type	_ZN9rocsparseL23check_matrix_ell_deviceILj256EflEEvT1_S1_S1_PKT0_PKS1_21rocsparse_index_base_22rocsparse_matrix_type_20rocsparse_fill_mode_23rocsparse_storage_mode_P22rocsparse_data_status_,@function
_ZN9rocsparseL23check_matrix_ell_deviceILj256EflEEvT1_S1_S1_PKT0_PKS1_21rocsparse_index_base_22rocsparse_matrix_type_20rocsparse_fill_mode_23rocsparse_storage_mode_P22rocsparse_data_status_: ; @_ZN9rocsparseL23check_matrix_ell_deviceILj256EflEEvT1_S1_S1_PKT0_PKS1_21rocsparse_index_base_22rocsparse_matrix_type_20rocsparse_fill_mode_23rocsparse_storage_mode_P22rocsparse_data_status_
; %bb.0:
	s_load_dwordx4 s[8:11], s[4:5], 0x0
	v_lshl_or_b32 v0, s6, 8, v0
	v_mov_b32_e32 v1, 0
	s_waitcnt lgkmcnt(0)
	v_cmp_gt_i64_e32 vcc, s[8:9], v[0:1]
	s_and_saveexec_b64 s[0:1], vcc
	s_cbranch_execz .LBB4_28
; %bb.1:
	s_load_dwordx2 s[2:3], s[4:5], 0x10
	s_waitcnt lgkmcnt(0)
	v_cmp_lt_i64_e64 s[0:1], s[2:3], 1
	s_and_b64 vcc, exec, s[0:1]
	s_cbranch_vccnz .LBB4_28
; %bb.2:
	s_load_dwordx2 s[0:1], s[4:5], 0x20
	v_lshlrev_b64 v[2:3], 3, v[0:1]
	s_waitcnt lgkmcnt(0)
	v_mov_b32_e32 v5, s1
	v_add_co_u32_e32 v4, vcc, s0, v2
	v_addc_co_u32_e32 v5, vcc, v5, v3, vcc
	global_load_dwordx2 v[2:3], v[4:5], off
	s_waitcnt vmcnt(0)
	v_cmp_ne_u64_e32 vcc, -1, v[2:3]
	s_and_b64 exec, exec, vcc
	s_cbranch_execz .LBB4_28
; %bb.3:
	s_load_dword s33, s[4:5], 0x28
	v_mov_b32_e32 v9, 4
	s_waitcnt lgkmcnt(0)
	v_subrev_co_u32_e32 v2, vcc, s33, v2
	v_subbrev_co_u32_e32 v3, vcc, 0, v3, vcc
	v_cmp_lt_i64_e32 vcc, -1, v[2:3]
	v_cmp_gt_i64_e64 s[0:1], s[10:11], v[2:3]
	s_and_b64 s[0:1], vcc, s[0:1]
	s_xor_b64 s[6:7], s[0:1], -1
	s_and_saveexec_b64 s[12:13], s[0:1]
	s_cbranch_execz .LBB4_26
; %bb.4:
	s_load_dwordx2 s[26:27], s[4:5], 0x18
	v_lshlrev_b64 v[0:1], 2, v[0:1]
	s_mov_b32 s14, 0x7f800000
	v_mov_b32_e32 v9, 1
	s_waitcnt lgkmcnt(0)
	v_mov_b32_e32 v3, s27
	v_add_co_u32_e32 v2, vcc, s26, v0
	v_addc_co_u32_e32 v3, vcc, v3, v1, vcc
	global_load_dword v2, v[2:3], off
	s_waitcnt vmcnt(0)
	v_cmp_eq_f32_e64 s[0:1], s14, v2
	v_cmp_neq_f32_e32 vcc, s14, v2
	s_and_saveexec_b64 s[14:15], vcc
	s_cbranch_execz .LBB4_25
; %bb.5:
	v_cmp_o_f32_e32 vcc, v2, v2
	s_mov_b64 s[18:19], -1
	v_mov_b32_e32 v9, 2
	s_and_saveexec_b64 s[16:17], vcc
	s_cbranch_execz .LBB4_24
; %bb.6:
	s_cmp_lg_u64 s[2:3], 1
	s_cbranch_scc0 .LBB4_21
; %bb.7:
	s_load_dword s20, s[4:5], 0x34
                                        ; implicit-def: $sgpr30_sgpr31
                                        ; implicit-def: $sgpr34_sgpr35
	s_waitcnt lgkmcnt(0)
	s_cmp_eq_u32 s20, 0
	s_cselect_b64 s[18:19], -1, 0
	s_cmp_lg_u32 s20, 0
	s_cselect_b64 s[20:21], -1, 0
	s_add_u32 s22, s2, -1
	s_addc_u32 s23, s3, -1
	s_lshl_b64 s[24:25], s[8:9], 2
	s_add_u32 s2, s26, s24
	s_addc_u32 s3, s27, s25
	v_mov_b32_e32 v2, s3
	v_add_co_u32_e32 v0, vcc, s2, v0
	s_lshl_b64 s[28:29], s[8:9], 3
	v_addc_co_u32_e32 v1, vcc, v2, v1, vcc
	s_mov_b64 s[26:27], 0
	v_mov_b32_e32 v8, s29
	s_mov_b32 s29, 0x7f800000
                                        ; implicit-def: $sgpr8_sgpr9
	s_branch .LBB4_13
.LBB4_8:                                ;   in Loop: Header=BB4_13 Depth=1
	s_or_b64 exec, exec, s[44:45]
	v_mov_b32_e32 v9, s50
	s_and_b64 s[44:45], s[42:43], exec
	s_orn2_b64 s[42:43], s[46:47], exec
.LBB4_9:                                ;   in Loop: Header=BB4_13 Depth=1
	s_or_b64 exec, exec, s[40:41]
	s_and_b64 s[44:45], s[44:45], exec
	s_orn2_b64 s[40:41], s[42:43], exec
.LBB4_10:                               ;   in Loop: Header=BB4_13 Depth=1
	s_or_b64 exec, exec, s[38:39]
	s_and_b64 s[42:43], s[44:45], exec
	s_orn2_b64 s[38:39], s[40:41], exec
.LBB4_11:                               ;   in Loop: Header=BB4_13 Depth=1
	s_or_b64 exec, exec, s[2:3]
	s_andn2_b64 s[2:3], s[34:35], exec
	s_and_b64 s[34:35], s[42:43], exec
	s_or_b64 s[34:35], s[2:3], s[34:35]
	s_andn2_b64 s[2:3], s[30:31], exec
	s_and_b64 s[30:31], s[38:39], exec
	s_or_b64 s[30:31], s[2:3], s[30:31]
.LBB4_12:                               ;   in Loop: Header=BB4_13 Depth=1
	s_or_b64 exec, exec, s[36:37]
	s_xor_b64 s[2:3], s[34:35], -1
	s_and_b64 s[36:37], exec, s[30:31]
	s_or_b64 s[26:27], s[36:37], s[26:27]
	s_andn2_b64 s[8:9], s[8:9], exec
	s_and_b64 s[2:3], s[2:3], exec
	v_mov_b32_e32 v5, v3
	s_or_b64 s[8:9], s[8:9], s[2:3]
	v_mov_b32_e32 v4, v2
	s_andn2_b64 exec, exec, s[26:27]
	s_cbranch_execz .LBB4_22
.LBB4_13:                               ; =>This Inner Loop Header: Depth=1
	v_add_co_u32_e32 v2, vcc, s28, v4
	v_addc_co_u32_e32 v3, vcc, v5, v8, vcc
	global_load_dwordx2 v[6:7], v[2:3], off
	s_or_b64 s[34:35], s[34:35], exec
	s_or_b64 s[30:31], s[30:31], exec
                                        ; implicit-def: $vgpr9
	s_waitcnt vmcnt(0)
	v_cmp_ne_u64_e32 vcc, -1, v[6:7]
	s_and_saveexec_b64 s[36:37], vcc
	s_cbranch_execz .LBB4_12
; %bb.14:                               ;   in Loop: Header=BB4_13 Depth=1
	v_subrev_co_u32_e32 v9, vcc, s33, v6
	v_subbrev_co_u32_e32 v10, vcc, 0, v7, vcc
	v_cmp_lt_i64_e32 vcc, -1, v[9:10]
	v_cmp_gt_i64_e64 s[2:3], s[10:11], v[9:10]
	s_mov_b64 s[38:39], -1
	s_and_b64 s[40:41], vcc, s[2:3]
	v_mov_b32_e32 v9, 4
	s_mov_b64 s[42:43], 0
	s_and_saveexec_b64 s[2:3], s[40:41]
	s_cbranch_execz .LBB4_11
; %bb.15:                               ;   in Loop: Header=BB4_13 Depth=1
	global_load_dword v10, v[0:1], off
	s_mov_b64 s[40:41], -1
	v_mov_b32_e32 v9, 1
	s_mov_b64 s[44:45], 0
	s_waitcnt vmcnt(0)
	v_cmp_neq_f32_e32 vcc, s29, v10
	s_and_saveexec_b64 s[38:39], vcc
	s_cbranch_execz .LBB4_10
; %bb.16:                               ;   in Loop: Header=BB4_13 Depth=1
	v_cmp_o_f32_e32 vcc, v10, v10
	s_mov_b64 s[42:43], -1
	v_mov_b32_e32 v9, 2
	s_and_saveexec_b64 s[40:41], vcc
	s_cbranch_execz .LBB4_9
; %bb.17:                               ;   in Loop: Header=BB4_13 Depth=1
	s_mov_b32 s50, 2
	s_and_b64 vcc, exec, s[18:19]
	s_mov_b64 s[48:49], s[20:21]
	s_cbranch_vccz .LBB4_19
; %bb.18:                               ;   in Loop: Header=BB4_13 Depth=1
	global_load_dwordx2 v[4:5], v[4:5], off
	s_andn2_b64 s[42:43], s[20:21], exec
	s_mov_b32 s50, 6
	s_waitcnt vmcnt(0)
	v_cmp_lt_i64_e32 vcc, v[4:5], v[6:7]
	s_and_b64 s[44:45], vcc, exec
	s_or_b64 s[48:49], s[42:43], s[44:45]
.LBB4_19:                               ;   in Loop: Header=BB4_13 Depth=1
	s_mov_b64 s[46:47], -1
	s_mov_b64 s[42:43], 0
	s_and_saveexec_b64 s[44:45], s[48:49]
	s_cbranch_execz .LBB4_8
; %bb.20:                               ;   in Loop: Header=BB4_13 Depth=1
	s_add_u32 s22, s22, -1
	s_addc_u32 s23, s23, -1
	s_cmp_eq_u64 s[22:23], 0
	v_mov_b32_e32 v4, s25
	v_add_co_u32_e32 v0, vcc, s24, v0
	s_cselect_b64 s[46:47], -1, 0
	s_mov_b64 s[42:43], exec
	v_addc_co_u32_e32 v1, vcc, v1, v4, vcc
	s_orn2_b64 s[46:47], s[46:47], exec
	s_branch .LBB4_8
.LBB4_21:
	s_mov_b64 s[8:9], 0
	v_mov_b32_e32 v9, 2
	s_branch .LBB4_23
.LBB4_22:
	s_or_b64 exec, exec, s[26:27]
.LBB4_23:
	s_orn2_b64 s[18:19], s[8:9], exec
.LBB4_24:
	s_or_b64 exec, exec, s[16:17]
	s_andn2_b64 s[0:1], s[0:1], exec
	s_and_b64 s[2:3], s[18:19], exec
	s_or_b64 s[0:1], s[0:1], s[2:3]
.LBB4_25:
	s_or_b64 exec, exec, s[14:15]
	s_andn2_b64 s[2:3], s[6:7], exec
	s_and_b64 s[0:1], s[0:1], exec
	s_or_b64 s[6:7], s[2:3], s[0:1]
.LBB4_26:
	s_or_b64 exec, exec, s[12:13]
	s_and_b64 exec, exec, s[6:7]
	s_cbranch_execz .LBB4_28
; %bb.27:
	s_load_dwordx2 s[0:1], s[4:5], 0x38
	v_mov_b32_e32 v0, 0
	s_waitcnt lgkmcnt(0)
	global_store_dword v0, v9, s[0:1]
.LBB4_28:
	s_endpgm
	.section	.rodata,"a",@progbits
	.p2align	6, 0x0
	.amdhsa_kernel _ZN9rocsparseL23check_matrix_ell_deviceILj256EflEEvT1_S1_S1_PKT0_PKS1_21rocsparse_index_base_22rocsparse_matrix_type_20rocsparse_fill_mode_23rocsparse_storage_mode_P22rocsparse_data_status_
		.amdhsa_group_segment_fixed_size 0
		.amdhsa_private_segment_fixed_size 0
		.amdhsa_kernarg_size 64
		.amdhsa_user_sgpr_count 6
		.amdhsa_user_sgpr_private_segment_buffer 1
		.amdhsa_user_sgpr_dispatch_ptr 0
		.amdhsa_user_sgpr_queue_ptr 0
		.amdhsa_user_sgpr_kernarg_segment_ptr 1
		.amdhsa_user_sgpr_dispatch_id 0
		.amdhsa_user_sgpr_flat_scratch_init 0
		.amdhsa_user_sgpr_private_segment_size 0
		.amdhsa_uses_dynamic_stack 0
		.amdhsa_system_sgpr_private_segment_wavefront_offset 0
		.amdhsa_system_sgpr_workgroup_id_x 1
		.amdhsa_system_sgpr_workgroup_id_y 0
		.amdhsa_system_sgpr_workgroup_id_z 0
		.amdhsa_system_sgpr_workgroup_info 0
		.amdhsa_system_vgpr_workitem_id 0
		.amdhsa_next_free_vgpr 11
		.amdhsa_next_free_sgpr 51
		.amdhsa_reserve_vcc 1
		.amdhsa_reserve_flat_scratch 0
		.amdhsa_float_round_mode_32 0
		.amdhsa_float_round_mode_16_64 0
		.amdhsa_float_denorm_mode_32 3
		.amdhsa_float_denorm_mode_16_64 3
		.amdhsa_dx10_clamp 1
		.amdhsa_ieee_mode 1
		.amdhsa_fp16_overflow 0
		.amdhsa_exception_fp_ieee_invalid_op 0
		.amdhsa_exception_fp_denorm_src 0
		.amdhsa_exception_fp_ieee_div_zero 0
		.amdhsa_exception_fp_ieee_overflow 0
		.amdhsa_exception_fp_ieee_underflow 0
		.amdhsa_exception_fp_ieee_inexact 0
		.amdhsa_exception_int_div_zero 0
	.end_amdhsa_kernel
	.section	.text._ZN9rocsparseL23check_matrix_ell_deviceILj256EflEEvT1_S1_S1_PKT0_PKS1_21rocsparse_index_base_22rocsparse_matrix_type_20rocsparse_fill_mode_23rocsparse_storage_mode_P22rocsparse_data_status_,"axG",@progbits,_ZN9rocsparseL23check_matrix_ell_deviceILj256EflEEvT1_S1_S1_PKT0_PKS1_21rocsparse_index_base_22rocsparse_matrix_type_20rocsparse_fill_mode_23rocsparse_storage_mode_P22rocsparse_data_status_,comdat
.Lfunc_end4:
	.size	_ZN9rocsparseL23check_matrix_ell_deviceILj256EflEEvT1_S1_S1_PKT0_PKS1_21rocsparse_index_base_22rocsparse_matrix_type_20rocsparse_fill_mode_23rocsparse_storage_mode_P22rocsparse_data_status_, .Lfunc_end4-_ZN9rocsparseL23check_matrix_ell_deviceILj256EflEEvT1_S1_S1_PKT0_PKS1_21rocsparse_index_base_22rocsparse_matrix_type_20rocsparse_fill_mode_23rocsparse_storage_mode_P22rocsparse_data_status_
                                        ; -- End function
	.set _ZN9rocsparseL23check_matrix_ell_deviceILj256EflEEvT1_S1_S1_PKT0_PKS1_21rocsparse_index_base_22rocsparse_matrix_type_20rocsparse_fill_mode_23rocsparse_storage_mode_P22rocsparse_data_status_.num_vgpr, 11
	.set _ZN9rocsparseL23check_matrix_ell_deviceILj256EflEEvT1_S1_S1_PKT0_PKS1_21rocsparse_index_base_22rocsparse_matrix_type_20rocsparse_fill_mode_23rocsparse_storage_mode_P22rocsparse_data_status_.num_agpr, 0
	.set _ZN9rocsparseL23check_matrix_ell_deviceILj256EflEEvT1_S1_S1_PKT0_PKS1_21rocsparse_index_base_22rocsparse_matrix_type_20rocsparse_fill_mode_23rocsparse_storage_mode_P22rocsparse_data_status_.numbered_sgpr, 51
	.set _ZN9rocsparseL23check_matrix_ell_deviceILj256EflEEvT1_S1_S1_PKT0_PKS1_21rocsparse_index_base_22rocsparse_matrix_type_20rocsparse_fill_mode_23rocsparse_storage_mode_P22rocsparse_data_status_.num_named_barrier, 0
	.set _ZN9rocsparseL23check_matrix_ell_deviceILj256EflEEvT1_S1_S1_PKT0_PKS1_21rocsparse_index_base_22rocsparse_matrix_type_20rocsparse_fill_mode_23rocsparse_storage_mode_P22rocsparse_data_status_.private_seg_size, 0
	.set _ZN9rocsparseL23check_matrix_ell_deviceILj256EflEEvT1_S1_S1_PKT0_PKS1_21rocsparse_index_base_22rocsparse_matrix_type_20rocsparse_fill_mode_23rocsparse_storage_mode_P22rocsparse_data_status_.uses_vcc, 1
	.set _ZN9rocsparseL23check_matrix_ell_deviceILj256EflEEvT1_S1_S1_PKT0_PKS1_21rocsparse_index_base_22rocsparse_matrix_type_20rocsparse_fill_mode_23rocsparse_storage_mode_P22rocsparse_data_status_.uses_flat_scratch, 0
	.set _ZN9rocsparseL23check_matrix_ell_deviceILj256EflEEvT1_S1_S1_PKT0_PKS1_21rocsparse_index_base_22rocsparse_matrix_type_20rocsparse_fill_mode_23rocsparse_storage_mode_P22rocsparse_data_status_.has_dyn_sized_stack, 0
	.set _ZN9rocsparseL23check_matrix_ell_deviceILj256EflEEvT1_S1_S1_PKT0_PKS1_21rocsparse_index_base_22rocsparse_matrix_type_20rocsparse_fill_mode_23rocsparse_storage_mode_P22rocsparse_data_status_.has_recursion, 0
	.set _ZN9rocsparseL23check_matrix_ell_deviceILj256EflEEvT1_S1_S1_PKT0_PKS1_21rocsparse_index_base_22rocsparse_matrix_type_20rocsparse_fill_mode_23rocsparse_storage_mode_P22rocsparse_data_status_.has_indirect_call, 0
	.section	.AMDGPU.csdata,"",@progbits
; Kernel info:
; codeLenInByte = 808
; TotalNumSgprs: 55
; NumVgprs: 11
; ScratchSize: 0
; MemoryBound: 1
; FloatMode: 240
; IeeeMode: 1
; LDSByteSize: 0 bytes/workgroup (compile time only)
; SGPRBlocks: 6
; VGPRBlocks: 2
; NumSGPRsForWavesPerEU: 55
; NumVGPRsForWavesPerEU: 11
; Occupancy: 10
; WaveLimiterHint : 0
; COMPUTE_PGM_RSRC2:SCRATCH_EN: 0
; COMPUTE_PGM_RSRC2:USER_SGPR: 6
; COMPUTE_PGM_RSRC2:TRAP_HANDLER: 0
; COMPUTE_PGM_RSRC2:TGID_X_EN: 1
; COMPUTE_PGM_RSRC2:TGID_Y_EN: 0
; COMPUTE_PGM_RSRC2:TGID_Z_EN: 0
; COMPUTE_PGM_RSRC2:TIDIG_COMP_CNT: 0
	.section	.text._ZN9rocsparseL23check_matrix_ell_deviceILj256EdlEEvT1_S1_S1_PKT0_PKS1_21rocsparse_index_base_22rocsparse_matrix_type_20rocsparse_fill_mode_23rocsparse_storage_mode_P22rocsparse_data_status_,"axG",@progbits,_ZN9rocsparseL23check_matrix_ell_deviceILj256EdlEEvT1_S1_S1_PKT0_PKS1_21rocsparse_index_base_22rocsparse_matrix_type_20rocsparse_fill_mode_23rocsparse_storage_mode_P22rocsparse_data_status_,comdat
	.globl	_ZN9rocsparseL23check_matrix_ell_deviceILj256EdlEEvT1_S1_S1_PKT0_PKS1_21rocsparse_index_base_22rocsparse_matrix_type_20rocsparse_fill_mode_23rocsparse_storage_mode_P22rocsparse_data_status_ ; -- Begin function _ZN9rocsparseL23check_matrix_ell_deviceILj256EdlEEvT1_S1_S1_PKT0_PKS1_21rocsparse_index_base_22rocsparse_matrix_type_20rocsparse_fill_mode_23rocsparse_storage_mode_P22rocsparse_data_status_
	.p2align	8
	.type	_ZN9rocsparseL23check_matrix_ell_deviceILj256EdlEEvT1_S1_S1_PKT0_PKS1_21rocsparse_index_base_22rocsparse_matrix_type_20rocsparse_fill_mode_23rocsparse_storage_mode_P22rocsparse_data_status_,@function
_ZN9rocsparseL23check_matrix_ell_deviceILj256EdlEEvT1_S1_S1_PKT0_PKS1_21rocsparse_index_base_22rocsparse_matrix_type_20rocsparse_fill_mode_23rocsparse_storage_mode_P22rocsparse_data_status_: ; @_ZN9rocsparseL23check_matrix_ell_deviceILj256EdlEEvT1_S1_S1_PKT0_PKS1_21rocsparse_index_base_22rocsparse_matrix_type_20rocsparse_fill_mode_23rocsparse_storage_mode_P22rocsparse_data_status_
; %bb.0:
	s_load_dwordx4 s[8:11], s[4:5], 0x0
	v_lshl_or_b32 v0, s6, 8, v0
	v_mov_b32_e32 v1, 0
	s_waitcnt lgkmcnt(0)
	v_cmp_gt_i64_e32 vcc, s[8:9], v[0:1]
	s_and_saveexec_b64 s[0:1], vcc
	s_cbranch_execz .LBB5_28
; %bb.1:
	s_load_dwordx2 s[2:3], s[4:5], 0x10
	s_waitcnt lgkmcnt(0)
	v_cmp_lt_i64_e64 s[0:1], s[2:3], 1
	s_and_b64 vcc, exec, s[0:1]
	s_cbranch_vccnz .LBB5_28
; %bb.2:
	s_load_dwordx2 s[0:1], s[4:5], 0x20
	v_lshlrev_b64 v[0:1], 3, v[0:1]
	s_waitcnt lgkmcnt(0)
	v_mov_b32_e32 v2, s1
	v_add_co_u32_e32 v4, vcc, s0, v0
	v_addc_co_u32_e32 v5, vcc, v2, v1, vcc
	global_load_dwordx2 v[2:3], v[4:5], off
	s_waitcnt vmcnt(0)
	v_cmp_ne_u64_e32 vcc, -1, v[2:3]
	s_and_b64 exec, exec, vcc
	s_cbranch_execz .LBB5_28
; %bb.3:
	s_load_dword s33, s[4:5], 0x28
	v_mov_b32_e32 v11, 4
	s_waitcnt lgkmcnt(0)
	v_subrev_co_u32_e32 v2, vcc, s33, v2
	v_subbrev_co_u32_e32 v3, vcc, 0, v3, vcc
	v_cmp_lt_i64_e32 vcc, -1, v[2:3]
	v_cmp_gt_i64_e64 s[0:1], s[10:11], v[2:3]
	s_and_b64 s[0:1], vcc, s[0:1]
	s_xor_b64 s[6:7], s[0:1], -1
	s_and_saveexec_b64 s[12:13], s[0:1]
	s_cbranch_execz .LBB5_26
; %bb.4:
	s_load_dwordx2 s[0:1], s[4:5], 0x18
	s_mov_b32 s14, 0
	s_mov_b32 s15, 0x7ff00000
	v_mov_b32_e32 v11, 1
	s_waitcnt lgkmcnt(0)
	v_mov_b32_e32 v2, s1
	v_add_co_u32_e32 v0, vcc, s0, v0
	v_addc_co_u32_e32 v1, vcc, v2, v1, vcc
	global_load_dwordx2 v[2:3], v[0:1], off
	s_waitcnt vmcnt(0)
	v_cmp_eq_f64_e64 s[0:1], s[14:15], v[2:3]
	v_cmp_neq_f64_e32 vcc, s[14:15], v[2:3]
	s_and_saveexec_b64 s[14:15], vcc
	s_cbranch_execz .LBB5_25
; %bb.5:
	v_cmp_o_f64_e32 vcc, v[2:3], v[2:3]
	s_mov_b64 s[18:19], -1
	v_mov_b32_e32 v11, 2
	s_and_saveexec_b64 s[16:17], vcc
	s_cbranch_execz .LBB5_24
; %bb.6:
	s_cmp_lg_u64 s[2:3], 1
	s_cbranch_scc0 .LBB5_21
; %bb.7:
	s_load_dword s22, s[4:5], 0x34
	s_mov_b32 s28, 0
	s_mov_b64 s[18:19], 0
	s_mov_b32 s29, 0x7ff00000
                                        ; implicit-def: $sgpr30_sgpr31
                                        ; implicit-def: $sgpr34_sgpr35
	s_waitcnt lgkmcnt(0)
	s_cmp_eq_u32 s22, 0
	s_cselect_b64 s[20:21], -1, 0
	s_cmp_lg_u32 s22, 0
	s_cselect_b64 s[22:23], -1, 0
	s_add_u32 s24, s2, -1
	s_addc_u32 s25, s3, -1
	s_lshl_b64 s[26:27], s[8:9], 3
	v_mov_b32_e32 v10, s27
                                        ; implicit-def: $sgpr8_sgpr9
	s_branch .LBB5_13
.LBB5_8:                                ;   in Loop: Header=BB5_13 Depth=1
	s_or_b64 exec, exec, s[44:45]
	v_mov_b32_e32 v11, s27
	s_and_b64 s[44:45], s[42:43], exec
	s_orn2_b64 s[42:43], s[46:47], exec
.LBB5_9:                                ;   in Loop: Header=BB5_13 Depth=1
	s_or_b64 exec, exec, s[40:41]
	s_and_b64 s[40:41], s[44:45], exec
	s_orn2_b64 s[42:43], s[42:43], exec
.LBB5_10:                               ;   in Loop: Header=BB5_13 Depth=1
	s_or_b64 exec, exec, s[38:39]
	s_and_b64 s[40:41], s[40:41], exec
	s_orn2_b64 s[38:39], s[42:43], exec
.LBB5_11:                               ;   in Loop: Header=BB5_13 Depth=1
	s_or_b64 exec, exec, s[2:3]
	s_andn2_b64 s[2:3], s[34:35], exec
	s_and_b64 s[34:35], s[40:41], exec
	s_or_b64 s[34:35], s[2:3], s[34:35]
	s_andn2_b64 s[2:3], s[30:31], exec
	s_and_b64 s[30:31], s[38:39], exec
	s_or_b64 s[30:31], s[2:3], s[30:31]
.LBB5_12:                               ;   in Loop: Header=BB5_13 Depth=1
	s_or_b64 exec, exec, s[36:37]
	s_xor_b64 s[2:3], s[34:35], -1
	s_and_b64 s[36:37], exec, s[30:31]
	s_or_b64 s[18:19], s[36:37], s[18:19]
	s_andn2_b64 s[8:9], s[8:9], exec
	s_and_b64 s[2:3], s[2:3], exec
	v_mov_b32_e32 v5, v3
	s_or_b64 s[8:9], s[8:9], s[2:3]
	v_mov_b32_e32 v4, v2
	s_andn2_b64 exec, exec, s[18:19]
	s_cbranch_execz .LBB5_22
.LBB5_13:                               ; =>This Inner Loop Header: Depth=1
	v_add_co_u32_e32 v2, vcc, s26, v4
	v_addc_co_u32_e32 v3, vcc, v5, v10, vcc
	global_load_dwordx2 v[6:7], v[2:3], off
	s_or_b64 s[34:35], s[34:35], exec
	s_or_b64 s[30:31], s[30:31], exec
                                        ; implicit-def: $vgpr11
	s_waitcnt vmcnt(0)
	v_cmp_ne_u64_e32 vcc, -1, v[6:7]
	s_and_saveexec_b64 s[36:37], vcc
	s_cbranch_execz .LBB5_12
; %bb.14:                               ;   in Loop: Header=BB5_13 Depth=1
	v_subrev_co_u32_e32 v8, vcc, s33, v6
	v_subbrev_co_u32_e32 v9, vcc, 0, v7, vcc
	v_cmp_lt_i64_e32 vcc, -1, v[8:9]
	v_cmp_gt_i64_e64 s[2:3], s[10:11], v[8:9]
	s_mov_b64 s[38:39], -1
	s_and_b64 s[42:43], vcc, s[2:3]
	v_mov_b32_e32 v11, 4
	s_mov_b64 s[40:41], 0
	s_and_saveexec_b64 s[2:3], s[42:43]
	s_cbranch_execz .LBB5_11
; %bb.15:                               ;   in Loop: Header=BB5_13 Depth=1
	v_add_co_u32_e32 v0, vcc, s26, v0
	v_addc_co_u32_e32 v1, vcc, v1, v10, vcc
	global_load_dwordx2 v[8:9], v[0:1], off
	s_mov_b64 s[42:43], -1
	v_mov_b32_e32 v11, 1
	s_waitcnt vmcnt(0)
	v_cmp_neq_f64_e32 vcc, s[28:29], v[8:9]
	s_and_saveexec_b64 s[38:39], vcc
	s_cbranch_execz .LBB5_10
; %bb.16:                               ;   in Loop: Header=BB5_13 Depth=1
	v_cmp_o_f64_e32 vcc, v[8:9], v[8:9]
	v_mov_b32_e32 v11, 2
	s_mov_b64 s[44:45], 0
	s_and_saveexec_b64 s[40:41], vcc
	s_cbranch_execz .LBB5_9
; %bb.17:                               ;   in Loop: Header=BB5_13 Depth=1
	s_mov_b32 s27, 2
	s_and_b64 vcc, exec, s[20:21]
	s_mov_b64 s[48:49], s[22:23]
	s_cbranch_vccz .LBB5_19
; %bb.18:                               ;   in Loop: Header=BB5_13 Depth=1
	global_load_dwordx2 v[4:5], v[4:5], off
	s_andn2_b64 s[42:43], s[22:23], exec
	s_mov_b32 s27, 6
	s_waitcnt vmcnt(0)
	v_cmp_lt_i64_e32 vcc, v[4:5], v[6:7]
	s_and_b64 s[44:45], vcc, exec
	s_or_b64 s[48:49], s[42:43], s[44:45]
.LBB5_19:                               ;   in Loop: Header=BB5_13 Depth=1
	s_mov_b64 s[46:47], -1
	s_mov_b64 s[42:43], 0
	s_and_saveexec_b64 s[44:45], s[48:49]
	s_cbranch_execz .LBB5_8
; %bb.20:                               ;   in Loop: Header=BB5_13 Depth=1
	s_add_u32 s24, s24, -1
	s_addc_u32 s25, s25, -1
	s_cmp_eq_u64 s[24:25], 0
	s_cselect_b64 s[46:47], -1, 0
	s_mov_b64 s[42:43], exec
	s_orn2_b64 s[46:47], s[46:47], exec
	s_branch .LBB5_8
.LBB5_21:
	s_mov_b64 s[8:9], 0
	v_mov_b32_e32 v11, 2
	s_branch .LBB5_23
.LBB5_22:
	s_or_b64 exec, exec, s[18:19]
.LBB5_23:
	s_orn2_b64 s[18:19], s[8:9], exec
.LBB5_24:
	s_or_b64 exec, exec, s[16:17]
	s_andn2_b64 s[0:1], s[0:1], exec
	s_and_b64 s[2:3], s[18:19], exec
	s_or_b64 s[0:1], s[0:1], s[2:3]
.LBB5_25:
	s_or_b64 exec, exec, s[14:15]
	s_andn2_b64 s[2:3], s[6:7], exec
	s_and_b64 s[0:1], s[0:1], exec
	s_or_b64 s[6:7], s[2:3], s[0:1]
.LBB5_26:
	s_or_b64 exec, exec, s[12:13]
	s_and_b64 exec, exec, s[6:7]
	s_cbranch_execz .LBB5_28
; %bb.27:
	s_load_dwordx2 s[0:1], s[4:5], 0x38
	v_mov_b32_e32 v0, 0
	s_waitcnt lgkmcnt(0)
	global_store_dword v0, v11, s[0:1]
.LBB5_28:
	s_endpgm
	.section	.rodata,"a",@progbits
	.p2align	6, 0x0
	.amdhsa_kernel _ZN9rocsparseL23check_matrix_ell_deviceILj256EdlEEvT1_S1_S1_PKT0_PKS1_21rocsparse_index_base_22rocsparse_matrix_type_20rocsparse_fill_mode_23rocsparse_storage_mode_P22rocsparse_data_status_
		.amdhsa_group_segment_fixed_size 0
		.amdhsa_private_segment_fixed_size 0
		.amdhsa_kernarg_size 64
		.amdhsa_user_sgpr_count 6
		.amdhsa_user_sgpr_private_segment_buffer 1
		.amdhsa_user_sgpr_dispatch_ptr 0
		.amdhsa_user_sgpr_queue_ptr 0
		.amdhsa_user_sgpr_kernarg_segment_ptr 1
		.amdhsa_user_sgpr_dispatch_id 0
		.amdhsa_user_sgpr_flat_scratch_init 0
		.amdhsa_user_sgpr_private_segment_size 0
		.amdhsa_uses_dynamic_stack 0
		.amdhsa_system_sgpr_private_segment_wavefront_offset 0
		.amdhsa_system_sgpr_workgroup_id_x 1
		.amdhsa_system_sgpr_workgroup_id_y 0
		.amdhsa_system_sgpr_workgroup_id_z 0
		.amdhsa_system_sgpr_workgroup_info 0
		.amdhsa_system_vgpr_workitem_id 0
		.amdhsa_next_free_vgpr 12
		.amdhsa_next_free_sgpr 50
		.amdhsa_reserve_vcc 1
		.amdhsa_reserve_flat_scratch 0
		.amdhsa_float_round_mode_32 0
		.amdhsa_float_round_mode_16_64 0
		.amdhsa_float_denorm_mode_32 3
		.amdhsa_float_denorm_mode_16_64 3
		.amdhsa_dx10_clamp 1
		.amdhsa_ieee_mode 1
		.amdhsa_fp16_overflow 0
		.amdhsa_exception_fp_ieee_invalid_op 0
		.amdhsa_exception_fp_denorm_src 0
		.amdhsa_exception_fp_ieee_div_zero 0
		.amdhsa_exception_fp_ieee_overflow 0
		.amdhsa_exception_fp_ieee_underflow 0
		.amdhsa_exception_fp_ieee_inexact 0
		.amdhsa_exception_int_div_zero 0
	.end_amdhsa_kernel
	.section	.text._ZN9rocsparseL23check_matrix_ell_deviceILj256EdlEEvT1_S1_S1_PKT0_PKS1_21rocsparse_index_base_22rocsparse_matrix_type_20rocsparse_fill_mode_23rocsparse_storage_mode_P22rocsparse_data_status_,"axG",@progbits,_ZN9rocsparseL23check_matrix_ell_deviceILj256EdlEEvT1_S1_S1_PKT0_PKS1_21rocsparse_index_base_22rocsparse_matrix_type_20rocsparse_fill_mode_23rocsparse_storage_mode_P22rocsparse_data_status_,comdat
.Lfunc_end5:
	.size	_ZN9rocsparseL23check_matrix_ell_deviceILj256EdlEEvT1_S1_S1_PKT0_PKS1_21rocsparse_index_base_22rocsparse_matrix_type_20rocsparse_fill_mode_23rocsparse_storage_mode_P22rocsparse_data_status_, .Lfunc_end5-_ZN9rocsparseL23check_matrix_ell_deviceILj256EdlEEvT1_S1_S1_PKT0_PKS1_21rocsparse_index_base_22rocsparse_matrix_type_20rocsparse_fill_mode_23rocsparse_storage_mode_P22rocsparse_data_status_
                                        ; -- End function
	.set _ZN9rocsparseL23check_matrix_ell_deviceILj256EdlEEvT1_S1_S1_PKT0_PKS1_21rocsparse_index_base_22rocsparse_matrix_type_20rocsparse_fill_mode_23rocsparse_storage_mode_P22rocsparse_data_status_.num_vgpr, 12
	.set _ZN9rocsparseL23check_matrix_ell_deviceILj256EdlEEvT1_S1_S1_PKT0_PKS1_21rocsparse_index_base_22rocsparse_matrix_type_20rocsparse_fill_mode_23rocsparse_storage_mode_P22rocsparse_data_status_.num_agpr, 0
	.set _ZN9rocsparseL23check_matrix_ell_deviceILj256EdlEEvT1_S1_S1_PKT0_PKS1_21rocsparse_index_base_22rocsparse_matrix_type_20rocsparse_fill_mode_23rocsparse_storage_mode_P22rocsparse_data_status_.numbered_sgpr, 50
	.set _ZN9rocsparseL23check_matrix_ell_deviceILj256EdlEEvT1_S1_S1_PKT0_PKS1_21rocsparse_index_base_22rocsparse_matrix_type_20rocsparse_fill_mode_23rocsparse_storage_mode_P22rocsparse_data_status_.num_named_barrier, 0
	.set _ZN9rocsparseL23check_matrix_ell_deviceILj256EdlEEvT1_S1_S1_PKT0_PKS1_21rocsparse_index_base_22rocsparse_matrix_type_20rocsparse_fill_mode_23rocsparse_storage_mode_P22rocsparse_data_status_.private_seg_size, 0
	.set _ZN9rocsparseL23check_matrix_ell_deviceILj256EdlEEvT1_S1_S1_PKT0_PKS1_21rocsparse_index_base_22rocsparse_matrix_type_20rocsparse_fill_mode_23rocsparse_storage_mode_P22rocsparse_data_status_.uses_vcc, 1
	.set _ZN9rocsparseL23check_matrix_ell_deviceILj256EdlEEvT1_S1_S1_PKT0_PKS1_21rocsparse_index_base_22rocsparse_matrix_type_20rocsparse_fill_mode_23rocsparse_storage_mode_P22rocsparse_data_status_.uses_flat_scratch, 0
	.set _ZN9rocsparseL23check_matrix_ell_deviceILj256EdlEEvT1_S1_S1_PKT0_PKS1_21rocsparse_index_base_22rocsparse_matrix_type_20rocsparse_fill_mode_23rocsparse_storage_mode_P22rocsparse_data_status_.has_dyn_sized_stack, 0
	.set _ZN9rocsparseL23check_matrix_ell_deviceILj256EdlEEvT1_S1_S1_PKT0_PKS1_21rocsparse_index_base_22rocsparse_matrix_type_20rocsparse_fill_mode_23rocsparse_storage_mode_P22rocsparse_data_status_.has_recursion, 0
	.set _ZN9rocsparseL23check_matrix_ell_deviceILj256EdlEEvT1_S1_S1_PKT0_PKS1_21rocsparse_index_base_22rocsparse_matrix_type_20rocsparse_fill_mode_23rocsparse_storage_mode_P22rocsparse_data_status_.has_indirect_call, 0
	.section	.AMDGPU.csdata,"",@progbits
; Kernel info:
; codeLenInByte = 776
; TotalNumSgprs: 54
; NumVgprs: 12
; ScratchSize: 0
; MemoryBound: 1
; FloatMode: 240
; IeeeMode: 1
; LDSByteSize: 0 bytes/workgroup (compile time only)
; SGPRBlocks: 6
; VGPRBlocks: 2
; NumSGPRsForWavesPerEU: 54
; NumVGPRsForWavesPerEU: 12
; Occupancy: 10
; WaveLimiterHint : 0
; COMPUTE_PGM_RSRC2:SCRATCH_EN: 0
; COMPUTE_PGM_RSRC2:USER_SGPR: 6
; COMPUTE_PGM_RSRC2:TRAP_HANDLER: 0
; COMPUTE_PGM_RSRC2:TGID_X_EN: 1
; COMPUTE_PGM_RSRC2:TGID_Y_EN: 0
; COMPUTE_PGM_RSRC2:TGID_Z_EN: 0
; COMPUTE_PGM_RSRC2:TIDIG_COMP_CNT: 0
	.section	.text._ZN9rocsparseL23check_matrix_ell_deviceILj256E21rocsparse_complex_numIfElEEvT1_S3_S3_PKT0_PKS3_21rocsparse_index_base_22rocsparse_matrix_type_20rocsparse_fill_mode_23rocsparse_storage_mode_P22rocsparse_data_status_,"axG",@progbits,_ZN9rocsparseL23check_matrix_ell_deviceILj256E21rocsparse_complex_numIfElEEvT1_S3_S3_PKT0_PKS3_21rocsparse_index_base_22rocsparse_matrix_type_20rocsparse_fill_mode_23rocsparse_storage_mode_P22rocsparse_data_status_,comdat
	.globl	_ZN9rocsparseL23check_matrix_ell_deviceILj256E21rocsparse_complex_numIfElEEvT1_S3_S3_PKT0_PKS3_21rocsparse_index_base_22rocsparse_matrix_type_20rocsparse_fill_mode_23rocsparse_storage_mode_P22rocsparse_data_status_ ; -- Begin function _ZN9rocsparseL23check_matrix_ell_deviceILj256E21rocsparse_complex_numIfElEEvT1_S3_S3_PKT0_PKS3_21rocsparse_index_base_22rocsparse_matrix_type_20rocsparse_fill_mode_23rocsparse_storage_mode_P22rocsparse_data_status_
	.p2align	8
	.type	_ZN9rocsparseL23check_matrix_ell_deviceILj256E21rocsparse_complex_numIfElEEvT1_S3_S3_PKT0_PKS3_21rocsparse_index_base_22rocsparse_matrix_type_20rocsparse_fill_mode_23rocsparse_storage_mode_P22rocsparse_data_status_,@function
_ZN9rocsparseL23check_matrix_ell_deviceILj256E21rocsparse_complex_numIfElEEvT1_S3_S3_PKT0_PKS3_21rocsparse_index_base_22rocsparse_matrix_type_20rocsparse_fill_mode_23rocsparse_storage_mode_P22rocsparse_data_status_: ; @_ZN9rocsparseL23check_matrix_ell_deviceILj256E21rocsparse_complex_numIfElEEvT1_S3_S3_PKT0_PKS3_21rocsparse_index_base_22rocsparse_matrix_type_20rocsparse_fill_mode_23rocsparse_storage_mode_P22rocsparse_data_status_
; %bb.0:
	s_load_dwordx4 s[8:11], s[4:5], 0x0
	v_lshl_or_b32 v0, s6, 8, v0
	v_mov_b32_e32 v1, 0
	s_waitcnt lgkmcnt(0)
	v_cmp_gt_i64_e32 vcc, s[8:9], v[0:1]
	s_and_saveexec_b64 s[0:1], vcc
	s_cbranch_execz .LBB6_28
; %bb.1:
	s_load_dwordx2 s[26:27], s[4:5], 0x10
	s_waitcnt lgkmcnt(0)
	v_cmp_lt_i64_e64 s[0:1], s[26:27], 1
	s_and_b64 vcc, exec, s[0:1]
	s_cbranch_vccnz .LBB6_28
; %bb.2:
	s_load_dwordx2 s[12:13], s[4:5], 0x20
	v_lshlrev_b64 v[0:1], 3, v[0:1]
	s_waitcnt lgkmcnt(0)
	v_mov_b32_e32 v3, s13
	v_add_co_u32_e32 v2, vcc, s12, v0
	v_addc_co_u32_e32 v3, vcc, v3, v1, vcc
	global_load_dwordx2 v[2:3], v[2:3], off
	s_waitcnt vmcnt(0)
	v_cmp_ne_u64_e32 vcc, -1, v[2:3]
	s_and_b64 exec, exec, vcc
	s_cbranch_execz .LBB6_28
; %bb.3:
	s_load_dword s33, s[4:5], 0x28
	v_mov_b32_e32 v7, 4
	s_waitcnt lgkmcnt(0)
	v_subrev_co_u32_e32 v2, vcc, s33, v2
	v_subbrev_co_u32_e32 v3, vcc, 0, v3, vcc
	v_cmp_lt_i64_e32 vcc, -1, v[2:3]
	v_cmp_gt_i64_e64 s[0:1], s[10:11], v[2:3]
	s_and_b64 s[0:1], vcc, s[0:1]
	s_xor_b64 s[2:3], s[0:1], -1
	s_and_saveexec_b64 s[6:7], s[0:1]
	s_cbranch_execz .LBB6_26
; %bb.4:
	s_load_dwordx2 s[30:31], s[4:5], 0x18
	s_mov_b32 s0, 0x7f800000
	s_mov_b64 s[20:21], -1
	v_mov_b32_e32 v7, 1
	s_waitcnt lgkmcnt(0)
	v_mov_b32_e32 v3, s31
	v_add_co_u32_e32 v2, vcc, s30, v0
	v_addc_co_u32_e32 v3, vcc, v3, v1, vcc
	global_load_dwordx2 v[2:3], v[2:3], off
	s_waitcnt vmcnt(0)
	v_cmp_eq_f32_e32 vcc, s0, v2
	v_cmp_eq_f32_e64 s[0:1], s0, v3
	s_or_b64 s[14:15], vcc, s[0:1]
	s_xor_b64 s[0:1], s[14:15], -1
	s_and_saveexec_b64 s[16:17], s[0:1]
	s_cbranch_execz .LBB6_25
; %bb.5:
	v_cmp_o_f32_e32 vcc, v2, v3
	v_mov_b32_e32 v7, 2
	s_and_saveexec_b64 s[18:19], vcc
	s_cbranch_execz .LBB6_24
; %bb.6:
	s_cmp_lg_u64 s[26:27], 1
	s_cbranch_scc0 .LBB6_21
; %bb.7:
	s_load_dword s0, s[4:5], 0x34
	s_mov_b64 s[20:21], 0
	s_mov_b32 s53, 0x7f800000
                                        ; implicit-def: $sgpr34_sgpr35
	s_waitcnt lgkmcnt(0)
	s_cmp_eq_u32 s0, 0
	s_cselect_b64 s[22:23], -1, 0
	s_cmp_lg_u32 s0, 0
	s_cselect_b64 s[24:25], -1, 0
	s_add_u32 s26, s26, -1
	s_addc_u32 s27, s27, -1
	s_lshl_b64 s[28:29], s[8:9], 3
	s_add_u32 s50, s30, s28
	s_addc_u32 s51, s31, s29
	s_add_u32 s52, s12, s28
	s_addc_u32 s0, s13, s29
	v_mov_b32_e32 v6, s0
                                        ; implicit-def: $sgpr8_sgpr9
                                        ; implicit-def: $sgpr30_sgpr31
	s_branch .LBB6_13
.LBB6_8:                                ;   in Loop: Header=BB6_13 Depth=1
	s_or_b64 exec, exec, s[44:45]
	v_mov_b32_e32 v7, s54
	s_and_b64 s[44:45], s[42:43], exec
	s_orn2_b64 s[42:43], s[46:47], exec
.LBB6_9:                                ;   in Loop: Header=BB6_13 Depth=1
	s_or_b64 exec, exec, s[40:41]
	s_and_b64 s[44:45], s[44:45], exec
	s_orn2_b64 s[40:41], s[42:43], exec
.LBB6_10:                               ;   in Loop: Header=BB6_13 Depth=1
	s_or_b64 exec, exec, s[0:1]
	s_and_b64 s[42:43], s[44:45], exec
	s_orn2_b64 s[0:1], s[40:41], exec
.LBB6_11:                               ;   in Loop: Header=BB6_13 Depth=1
	s_or_b64 exec, exec, s[38:39]
	s_andn2_b64 s[34:35], s[34:35], exec
	s_and_b64 s[38:39], s[42:43], exec
	s_andn2_b64 s[30:31], s[30:31], exec
	s_and_b64 s[0:1], s[0:1], exec
	s_or_b64 s[34:35], s[34:35], s[38:39]
	s_or_b64 s[30:31], s[30:31], s[0:1]
.LBB6_12:                               ;   in Loop: Header=BB6_13 Depth=1
	s_or_b64 exec, exec, s[36:37]
	s_xor_b64 s[0:1], s[34:35], -1
	s_and_b64 s[36:37], exec, s[30:31]
	s_or_b64 s[20:21], s[36:37], s[20:21]
	s_andn2_b64 s[8:9], s[8:9], exec
	s_and_b64 s[0:1], s[0:1], exec
	s_or_b64 s[8:9], s[8:9], s[0:1]
	s_andn2_b64 exec, exec, s[20:21]
	s_cbranch_execz .LBB6_22
.LBB6_13:                               ; =>This Inner Loop Header: Depth=1
	v_add_co_u32_e32 v2, vcc, s52, v0
	v_addc_co_u32_e32 v3, vcc, v6, v1, vcc
	global_load_dwordx2 v[2:3], v[2:3], off
	s_or_b64 s[34:35], s[34:35], exec
	s_or_b64 s[30:31], s[30:31], exec
                                        ; implicit-def: $vgpr7
	s_waitcnt vmcnt(0)
	v_cmp_ne_u64_e32 vcc, -1, v[2:3]
	s_and_saveexec_b64 s[36:37], vcc
	s_cbranch_execz .LBB6_12
; %bb.14:                               ;   in Loop: Header=BB6_13 Depth=1
	v_subrev_co_u32_e32 v4, vcc, s33, v2
	v_subbrev_co_u32_e32 v5, vcc, 0, v3, vcc
	v_cmp_lt_i64_e32 vcc, -1, v[4:5]
	v_cmp_gt_i64_e64 s[0:1], s[10:11], v[4:5]
	v_mov_b32_e32 v7, 4
	s_and_b64 s[40:41], vcc, s[0:1]
	s_mov_b64 s[0:1], -1
	s_mov_b64 s[42:43], 0
	s_and_saveexec_b64 s[38:39], s[40:41]
	s_cbranch_execz .LBB6_11
; %bb.15:                               ;   in Loop: Header=BB6_13 Depth=1
	v_mov_b32_e32 v5, s51
	v_add_co_u32_e32 v4, vcc, s50, v0
	v_addc_co_u32_e32 v5, vcc, v5, v1, vcc
	global_load_dwordx2 v[4:5], v[4:5], off
	s_mov_b64 s[40:41], -1
	v_mov_b32_e32 v7, 1
	s_mov_b64 s[44:45], 0
	s_waitcnt vmcnt(0)
	v_cmp_neq_f32_e32 vcc, s53, v4
	v_cmp_neq_f32_e64 s[0:1], s53, v5
	s_and_b64 s[42:43], vcc, s[0:1]
	s_and_saveexec_b64 s[0:1], s[42:43]
	s_cbranch_execz .LBB6_10
; %bb.16:                               ;   in Loop: Header=BB6_13 Depth=1
	v_cmp_o_f32_e32 vcc, v4, v5
	s_mov_b64 s[42:43], -1
	v_mov_b32_e32 v7, 2
	s_and_saveexec_b64 s[40:41], vcc
	s_cbranch_execz .LBB6_9
; %bb.17:                               ;   in Loop: Header=BB6_13 Depth=1
	s_mov_b32 s54, 2
	s_and_b64 vcc, exec, s[22:23]
	s_mov_b64 s[48:49], s[24:25]
	s_cbranch_vccz .LBB6_19
; %bb.18:                               ;   in Loop: Header=BB6_13 Depth=1
	v_mov_b32_e32 v5, s13
	v_add_co_u32_e32 v4, vcc, s12, v0
	v_addc_co_u32_e32 v5, vcc, v5, v1, vcc
	global_load_dwordx2 v[4:5], v[4:5], off
	s_andn2_b64 s[42:43], s[24:25], exec
	s_mov_b32 s54, 6
	s_waitcnt vmcnt(0)
	v_cmp_lt_i64_e32 vcc, v[4:5], v[2:3]
	s_and_b64 s[44:45], vcc, exec
	s_or_b64 s[48:49], s[42:43], s[44:45]
.LBB6_19:                               ;   in Loop: Header=BB6_13 Depth=1
	s_mov_b64 s[46:47], -1
	s_mov_b64 s[42:43], 0
	s_and_saveexec_b64 s[44:45], s[48:49]
	s_cbranch_execz .LBB6_8
; %bb.20:                               ;   in Loop: Header=BB6_13 Depth=1
	s_add_u32 s26, s26, -1
	s_addc_u32 s27, s27, -1
	s_cmp_eq_u64 s[26:27], 0
	v_mov_b32_e32 v2, s29
	v_add_co_u32_e32 v0, vcc, s28, v0
	s_cselect_b64 s[46:47], -1, 0
	s_mov_b64 s[42:43], exec
	v_addc_co_u32_e32 v1, vcc, v1, v2, vcc
	s_orn2_b64 s[46:47], s[46:47], exec
	s_branch .LBB6_8
.LBB6_21:
	s_mov_b64 s[8:9], 0
	v_mov_b32_e32 v7, 2
	s_branch .LBB6_23
.LBB6_22:
	s_or_b64 exec, exec, s[20:21]
.LBB6_23:
	s_orn2_b64 s[20:21], s[8:9], exec
.LBB6_24:
	s_or_b64 exec, exec, s[18:19]
	s_andn2_b64 s[0:1], s[14:15], exec
	s_and_b64 s[8:9], s[20:21], exec
	s_or_b64 s[14:15], s[0:1], s[8:9]
.LBB6_25:
	s_or_b64 exec, exec, s[16:17]
	s_andn2_b64 s[0:1], s[2:3], exec
	s_and_b64 s[2:3], s[14:15], exec
	s_or_b64 s[2:3], s[0:1], s[2:3]
.LBB6_26:
	s_or_b64 exec, exec, s[6:7]
	s_and_b64 exec, exec, s[2:3]
	s_cbranch_execz .LBB6_28
; %bb.27:
	s_load_dwordx2 s[0:1], s[4:5], 0x38
	v_mov_b32_e32 v0, 0
	s_waitcnt lgkmcnt(0)
	global_store_dword v0, v7, s[0:1]
.LBB6_28:
	s_endpgm
	.section	.rodata,"a",@progbits
	.p2align	6, 0x0
	.amdhsa_kernel _ZN9rocsparseL23check_matrix_ell_deviceILj256E21rocsparse_complex_numIfElEEvT1_S3_S3_PKT0_PKS3_21rocsparse_index_base_22rocsparse_matrix_type_20rocsparse_fill_mode_23rocsparse_storage_mode_P22rocsparse_data_status_
		.amdhsa_group_segment_fixed_size 0
		.amdhsa_private_segment_fixed_size 0
		.amdhsa_kernarg_size 64
		.amdhsa_user_sgpr_count 6
		.amdhsa_user_sgpr_private_segment_buffer 1
		.amdhsa_user_sgpr_dispatch_ptr 0
		.amdhsa_user_sgpr_queue_ptr 0
		.amdhsa_user_sgpr_kernarg_segment_ptr 1
		.amdhsa_user_sgpr_dispatch_id 0
		.amdhsa_user_sgpr_flat_scratch_init 0
		.amdhsa_user_sgpr_private_segment_size 0
		.amdhsa_uses_dynamic_stack 0
		.amdhsa_system_sgpr_private_segment_wavefront_offset 0
		.amdhsa_system_sgpr_workgroup_id_x 1
		.amdhsa_system_sgpr_workgroup_id_y 0
		.amdhsa_system_sgpr_workgroup_id_z 0
		.amdhsa_system_sgpr_workgroup_info 0
		.amdhsa_system_vgpr_workitem_id 0
		.amdhsa_next_free_vgpr 8
		.amdhsa_next_free_sgpr 55
		.amdhsa_reserve_vcc 1
		.amdhsa_reserve_flat_scratch 0
		.amdhsa_float_round_mode_32 0
		.amdhsa_float_round_mode_16_64 0
		.amdhsa_float_denorm_mode_32 3
		.amdhsa_float_denorm_mode_16_64 3
		.amdhsa_dx10_clamp 1
		.amdhsa_ieee_mode 1
		.amdhsa_fp16_overflow 0
		.amdhsa_exception_fp_ieee_invalid_op 0
		.amdhsa_exception_fp_denorm_src 0
		.amdhsa_exception_fp_ieee_div_zero 0
		.amdhsa_exception_fp_ieee_overflow 0
		.amdhsa_exception_fp_ieee_underflow 0
		.amdhsa_exception_fp_ieee_inexact 0
		.amdhsa_exception_int_div_zero 0
	.end_amdhsa_kernel
	.section	.text._ZN9rocsparseL23check_matrix_ell_deviceILj256E21rocsparse_complex_numIfElEEvT1_S3_S3_PKT0_PKS3_21rocsparse_index_base_22rocsparse_matrix_type_20rocsparse_fill_mode_23rocsparse_storage_mode_P22rocsparse_data_status_,"axG",@progbits,_ZN9rocsparseL23check_matrix_ell_deviceILj256E21rocsparse_complex_numIfElEEvT1_S3_S3_PKT0_PKS3_21rocsparse_index_base_22rocsparse_matrix_type_20rocsparse_fill_mode_23rocsparse_storage_mode_P22rocsparse_data_status_,comdat
.Lfunc_end6:
	.size	_ZN9rocsparseL23check_matrix_ell_deviceILj256E21rocsparse_complex_numIfElEEvT1_S3_S3_PKT0_PKS3_21rocsparse_index_base_22rocsparse_matrix_type_20rocsparse_fill_mode_23rocsparse_storage_mode_P22rocsparse_data_status_, .Lfunc_end6-_ZN9rocsparseL23check_matrix_ell_deviceILj256E21rocsparse_complex_numIfElEEvT1_S3_S3_PKT0_PKS3_21rocsparse_index_base_22rocsparse_matrix_type_20rocsparse_fill_mode_23rocsparse_storage_mode_P22rocsparse_data_status_
                                        ; -- End function
	.set _ZN9rocsparseL23check_matrix_ell_deviceILj256E21rocsparse_complex_numIfElEEvT1_S3_S3_PKT0_PKS3_21rocsparse_index_base_22rocsparse_matrix_type_20rocsparse_fill_mode_23rocsparse_storage_mode_P22rocsparse_data_status_.num_vgpr, 8
	.set _ZN9rocsparseL23check_matrix_ell_deviceILj256E21rocsparse_complex_numIfElEEvT1_S3_S3_PKT0_PKS3_21rocsparse_index_base_22rocsparse_matrix_type_20rocsparse_fill_mode_23rocsparse_storage_mode_P22rocsparse_data_status_.num_agpr, 0
	.set _ZN9rocsparseL23check_matrix_ell_deviceILj256E21rocsparse_complex_numIfElEEvT1_S3_S3_PKT0_PKS3_21rocsparse_index_base_22rocsparse_matrix_type_20rocsparse_fill_mode_23rocsparse_storage_mode_P22rocsparse_data_status_.numbered_sgpr, 55
	.set _ZN9rocsparseL23check_matrix_ell_deviceILj256E21rocsparse_complex_numIfElEEvT1_S3_S3_PKT0_PKS3_21rocsparse_index_base_22rocsparse_matrix_type_20rocsparse_fill_mode_23rocsparse_storage_mode_P22rocsparse_data_status_.num_named_barrier, 0
	.set _ZN9rocsparseL23check_matrix_ell_deviceILj256E21rocsparse_complex_numIfElEEvT1_S3_S3_PKT0_PKS3_21rocsparse_index_base_22rocsparse_matrix_type_20rocsparse_fill_mode_23rocsparse_storage_mode_P22rocsparse_data_status_.private_seg_size, 0
	.set _ZN9rocsparseL23check_matrix_ell_deviceILj256E21rocsparse_complex_numIfElEEvT1_S3_S3_PKT0_PKS3_21rocsparse_index_base_22rocsparse_matrix_type_20rocsparse_fill_mode_23rocsparse_storage_mode_P22rocsparse_data_status_.uses_vcc, 1
	.set _ZN9rocsparseL23check_matrix_ell_deviceILj256E21rocsparse_complex_numIfElEEvT1_S3_S3_PKT0_PKS3_21rocsparse_index_base_22rocsparse_matrix_type_20rocsparse_fill_mode_23rocsparse_storage_mode_P22rocsparse_data_status_.uses_flat_scratch, 0
	.set _ZN9rocsparseL23check_matrix_ell_deviceILj256E21rocsparse_complex_numIfElEEvT1_S3_S3_PKT0_PKS3_21rocsparse_index_base_22rocsparse_matrix_type_20rocsparse_fill_mode_23rocsparse_storage_mode_P22rocsparse_data_status_.has_dyn_sized_stack, 0
	.set _ZN9rocsparseL23check_matrix_ell_deviceILj256E21rocsparse_complex_numIfElEEvT1_S3_S3_PKT0_PKS3_21rocsparse_index_base_22rocsparse_matrix_type_20rocsparse_fill_mode_23rocsparse_storage_mode_P22rocsparse_data_status_.has_recursion, 0
	.set _ZN9rocsparseL23check_matrix_ell_deviceILj256E21rocsparse_complex_numIfElEEvT1_S3_S3_PKT0_PKS3_21rocsparse_index_base_22rocsparse_matrix_type_20rocsparse_fill_mode_23rocsparse_storage_mode_P22rocsparse_data_status_.has_indirect_call, 0
	.section	.AMDGPU.csdata,"",@progbits
; Kernel info:
; codeLenInByte = 828
; TotalNumSgprs: 59
; NumVgprs: 8
; ScratchSize: 0
; MemoryBound: 0
; FloatMode: 240
; IeeeMode: 1
; LDSByteSize: 0 bytes/workgroup (compile time only)
; SGPRBlocks: 7
; VGPRBlocks: 1
; NumSGPRsForWavesPerEU: 59
; NumVGPRsForWavesPerEU: 8
; Occupancy: 10
; WaveLimiterHint : 0
; COMPUTE_PGM_RSRC2:SCRATCH_EN: 0
; COMPUTE_PGM_RSRC2:USER_SGPR: 6
; COMPUTE_PGM_RSRC2:TRAP_HANDLER: 0
; COMPUTE_PGM_RSRC2:TGID_X_EN: 1
; COMPUTE_PGM_RSRC2:TGID_Y_EN: 0
; COMPUTE_PGM_RSRC2:TGID_Z_EN: 0
; COMPUTE_PGM_RSRC2:TIDIG_COMP_CNT: 0
	.section	.text._ZN9rocsparseL23check_matrix_ell_deviceILj256E21rocsparse_complex_numIdElEEvT1_S3_S3_PKT0_PKS3_21rocsparse_index_base_22rocsparse_matrix_type_20rocsparse_fill_mode_23rocsparse_storage_mode_P22rocsparse_data_status_,"axG",@progbits,_ZN9rocsparseL23check_matrix_ell_deviceILj256E21rocsparse_complex_numIdElEEvT1_S3_S3_PKT0_PKS3_21rocsparse_index_base_22rocsparse_matrix_type_20rocsparse_fill_mode_23rocsparse_storage_mode_P22rocsparse_data_status_,comdat
	.globl	_ZN9rocsparseL23check_matrix_ell_deviceILj256E21rocsparse_complex_numIdElEEvT1_S3_S3_PKT0_PKS3_21rocsparse_index_base_22rocsparse_matrix_type_20rocsparse_fill_mode_23rocsparse_storage_mode_P22rocsparse_data_status_ ; -- Begin function _ZN9rocsparseL23check_matrix_ell_deviceILj256E21rocsparse_complex_numIdElEEvT1_S3_S3_PKT0_PKS3_21rocsparse_index_base_22rocsparse_matrix_type_20rocsparse_fill_mode_23rocsparse_storage_mode_P22rocsparse_data_status_
	.p2align	8
	.type	_ZN9rocsparseL23check_matrix_ell_deviceILj256E21rocsparse_complex_numIdElEEvT1_S3_S3_PKT0_PKS3_21rocsparse_index_base_22rocsparse_matrix_type_20rocsparse_fill_mode_23rocsparse_storage_mode_P22rocsparse_data_status_,@function
_ZN9rocsparseL23check_matrix_ell_deviceILj256E21rocsparse_complex_numIdElEEvT1_S3_S3_PKT0_PKS3_21rocsparse_index_base_22rocsparse_matrix_type_20rocsparse_fill_mode_23rocsparse_storage_mode_P22rocsparse_data_status_: ; @_ZN9rocsparseL23check_matrix_ell_deviceILj256E21rocsparse_complex_numIdElEEvT1_S3_S3_PKT0_PKS3_21rocsparse_index_base_22rocsparse_matrix_type_20rocsparse_fill_mode_23rocsparse_storage_mode_P22rocsparse_data_status_
; %bb.0:
	s_load_dwordx4 s[8:11], s[4:5], 0x0
	v_lshl_or_b32 v0, s6, 8, v0
	v_mov_b32_e32 v1, 0
	s_waitcnt lgkmcnt(0)
	v_cmp_gt_i64_e32 vcc, s[8:9], v[0:1]
	s_and_saveexec_b64 s[0:1], vcc
	s_cbranch_execz .LBB7_28
; %bb.1:
	s_load_dwordx2 s[22:23], s[4:5], 0x10
	s_waitcnt lgkmcnt(0)
	v_cmp_lt_i64_e64 s[0:1], s[22:23], 1
	s_and_b64 vcc, exec, s[0:1]
	s_cbranch_vccnz .LBB7_28
; %bb.2:
	s_load_dwordx2 s[0:1], s[4:5], 0x20
	v_lshlrev_b64 v[2:3], 3, v[0:1]
	s_waitcnt lgkmcnt(0)
	v_mov_b32_e32 v4, s1
	v_add_co_u32_e32 v8, vcc, s0, v2
	v_addc_co_u32_e32 v9, vcc, v4, v3, vcc
	global_load_dwordx2 v[2:3], v[8:9], off
	s_waitcnt vmcnt(0)
	v_cmp_ne_u64_e32 vcc, -1, v[2:3]
	s_and_b64 exec, exec, vcc
	s_cbranch_execz .LBB7_28
; %bb.3:
	s_load_dword s33, s[4:5], 0x28
	v_mov_b32_e32 v13, 4
	s_waitcnt lgkmcnt(0)
	v_subrev_co_u32_e32 v2, vcc, s33, v2
	v_subbrev_co_u32_e32 v3, vcc, 0, v3, vcc
	v_cmp_lt_i64_e32 vcc, -1, v[2:3]
	v_cmp_gt_i64_e64 s[0:1], s[10:11], v[2:3]
	s_and_b64 s[0:1], vcc, s[0:1]
	s_xor_b64 s[2:3], s[0:1], -1
	s_and_saveexec_b64 s[6:7], s[0:1]
	s_cbranch_execz .LBB7_26
; %bb.4:
	s_load_dwordx2 s[26:27], s[4:5], 0x18
	v_lshlrev_b64 v[4:5], 4, v[0:1]
	s_mov_b32 s0, 0
	s_mov_b32 s1, 0x7ff00000
	s_mov_b64 s[18:19], -1
	s_waitcnt lgkmcnt(0)
	v_mov_b32_e32 v1, s27
	v_add_co_u32_e32 v0, vcc, s26, v4
	v_addc_co_u32_e32 v1, vcc, v1, v5, vcc
	global_load_dwordx4 v[0:3], v[0:1], off
	v_mov_b32_e32 v13, 1
	s_waitcnt vmcnt(0)
	v_cmp_eq_f64_e32 vcc, s[0:1], v[0:1]
	v_cmp_eq_f64_e64 s[0:1], s[0:1], v[2:3]
	s_or_b64 s[12:13], vcc, s[0:1]
	s_xor_b64 s[0:1], s[12:13], -1
	s_and_saveexec_b64 s[14:15], s[0:1]
	s_cbranch_execz .LBB7_25
; %bb.5:
	v_cmp_o_f64_e32 vcc, v[0:1], v[2:3]
	v_mov_b32_e32 v13, 2
	s_and_saveexec_b64 s[16:17], vcc
	s_cbranch_execz .LBB7_24
; %bb.6:
	s_cmp_lg_u64 s[22:23], 1
	s_cbranch_scc0 .LBB7_21
; %bb.7:
	s_load_dword s0, s[4:5], 0x34
	s_mov_b32 s30, 0
	s_mov_b32 s31, 0x7ff00000
                                        ; implicit-def: $sgpr34_sgpr35
                                        ; implicit-def: $sgpr36_sgpr37
	s_waitcnt lgkmcnt(0)
	s_cmp_eq_u32 s0, 0
	s_cselect_b64 s[18:19], -1, 0
	s_cmp_lg_u32 s0, 0
	s_cselect_b64 s[20:21], -1, 0
	s_add_u32 s22, s22, -1
	s_addc_u32 s23, s23, -1
	s_lshl_b64 s[24:25], s[8:9], 4
	s_add_u32 s0, s26, s24
	s_addc_u32 s1, s27, s25
	v_mov_b32_e32 v0, s1
	v_add_co_u32_e32 v1, vcc, s0, v4
	v_addc_co_u32_e32 v0, vcc, v0, v5, vcc
	v_add_co_u32_e32 v4, vcc, 8, v1
	s_lshl_b64 s[28:29], s[8:9], 3
	v_addc_co_u32_e32 v5, vcc, 0, v0, vcc
	s_mov_b64 s[26:27], 0
	v_mov_b32_e32 v12, s29
                                        ; implicit-def: $sgpr8_sgpr9
	s_branch .LBB7_13
.LBB7_8:                                ;   in Loop: Header=BB7_13 Depth=1
	s_or_b64 exec, exec, s[46:47]
	v_mov_b32_e32 v13, s29
	s_and_b64 s[46:47], s[44:45], exec
	s_orn2_b64 s[44:45], s[48:49], exec
.LBB7_9:                                ;   in Loop: Header=BB7_13 Depth=1
	s_or_b64 exec, exec, s[42:43]
	s_and_b64 s[46:47], s[46:47], exec
	s_orn2_b64 s[42:43], s[44:45], exec
.LBB7_10:                               ;   in Loop: Header=BB7_13 Depth=1
	s_or_b64 exec, exec, s[0:1]
	s_and_b64 s[44:45], s[46:47], exec
	s_orn2_b64 s[0:1], s[42:43], exec
.LBB7_11:                               ;   in Loop: Header=BB7_13 Depth=1
	s_or_b64 exec, exec, s[40:41]
	s_andn2_b64 s[36:37], s[36:37], exec
	s_and_b64 s[40:41], s[44:45], exec
	s_andn2_b64 s[34:35], s[34:35], exec
	s_and_b64 s[0:1], s[0:1], exec
	s_or_b64 s[36:37], s[36:37], s[40:41]
	s_or_b64 s[34:35], s[34:35], s[0:1]
.LBB7_12:                               ;   in Loop: Header=BB7_13 Depth=1
	s_or_b64 exec, exec, s[38:39]
	s_xor_b64 s[0:1], s[36:37], -1
	s_and_b64 s[38:39], exec, s[34:35]
	s_or_b64 s[26:27], s[38:39], s[26:27]
	s_andn2_b64 s[8:9], s[8:9], exec
	s_and_b64 s[0:1], s[0:1], exec
	v_mov_b32_e32 v9, v7
	s_or_b64 s[8:9], s[8:9], s[0:1]
	v_mov_b32_e32 v8, v6
	s_andn2_b64 exec, exec, s[26:27]
	s_cbranch_execz .LBB7_22
.LBB7_13:                               ; =>This Inner Loop Header: Depth=1
	v_add_co_u32_e32 v6, vcc, s28, v8
	v_addc_co_u32_e32 v7, vcc, v9, v12, vcc
	global_load_dwordx2 v[10:11], v[6:7], off
	s_or_b64 s[36:37], s[36:37], exec
	s_or_b64 s[34:35], s[34:35], exec
                                        ; implicit-def: $vgpr13
	s_waitcnt vmcnt(0)
	v_cmp_ne_u64_e32 vcc, -1, v[10:11]
	s_and_saveexec_b64 s[38:39], vcc
	s_cbranch_execz .LBB7_12
; %bb.14:                               ;   in Loop: Header=BB7_13 Depth=1
	v_subrev_co_u32_e32 v0, vcc, s33, v10
	v_subbrev_co_u32_e32 v1, vcc, 0, v11, vcc
	v_cmp_lt_i64_e32 vcc, -1, v[0:1]
	v_cmp_gt_i64_e64 s[0:1], s[10:11], v[0:1]
	v_mov_b32_e32 v13, 4
	s_and_b64 s[42:43], vcc, s[0:1]
	s_mov_b64 s[0:1], -1
	s_mov_b64 s[44:45], 0
	s_and_saveexec_b64 s[40:41], s[42:43]
	s_cbranch_execz .LBB7_11
; %bb.15:                               ;   in Loop: Header=BB7_13 Depth=1
	global_load_dwordx4 v[0:3], v[4:5], off offset:-8
	s_mov_b64 s[42:43], -1
	v_mov_b32_e32 v13, 1
	s_mov_b64 s[46:47], 0
	s_waitcnt vmcnt(0)
	v_cmp_neq_f64_e32 vcc, s[30:31], v[0:1]
	v_cmp_neq_f64_e64 s[0:1], s[30:31], v[2:3]
	s_and_b64 s[44:45], vcc, s[0:1]
	s_and_saveexec_b64 s[0:1], s[44:45]
	s_cbranch_execz .LBB7_10
; %bb.16:                               ;   in Loop: Header=BB7_13 Depth=1
	v_cmp_o_f64_e32 vcc, v[0:1], v[2:3]
	s_mov_b64 s[44:45], -1
	v_mov_b32_e32 v13, 2
	s_and_saveexec_b64 s[42:43], vcc
	s_cbranch_execz .LBB7_9
; %bb.17:                               ;   in Loop: Header=BB7_13 Depth=1
	s_mov_b32 s29, 2
	s_and_b64 vcc, exec, s[18:19]
	s_mov_b64 s[50:51], s[20:21]
	s_cbranch_vccz .LBB7_19
; %bb.18:                               ;   in Loop: Header=BB7_13 Depth=1
	global_load_dwordx2 v[0:1], v[8:9], off
	s_andn2_b64 s[44:45], s[20:21], exec
	s_mov_b32 s29, 6
	s_waitcnt vmcnt(0)
	v_cmp_lt_i64_e32 vcc, v[0:1], v[10:11]
	s_and_b64 s[46:47], vcc, exec
	s_or_b64 s[50:51], s[44:45], s[46:47]
.LBB7_19:                               ;   in Loop: Header=BB7_13 Depth=1
	s_mov_b64 s[48:49], -1
	s_mov_b64 s[44:45], 0
	s_and_saveexec_b64 s[46:47], s[50:51]
	s_cbranch_execz .LBB7_8
; %bb.20:                               ;   in Loop: Header=BB7_13 Depth=1
	s_add_u32 s22, s22, -1
	s_addc_u32 s23, s23, -1
	s_cmp_eq_u64 s[22:23], 0
	v_mov_b32_e32 v0, s25
	v_add_co_u32_e32 v4, vcc, s24, v4
	s_cselect_b64 s[48:49], -1, 0
	s_mov_b64 s[44:45], exec
	v_addc_co_u32_e32 v5, vcc, v5, v0, vcc
	s_orn2_b64 s[48:49], s[48:49], exec
	s_branch .LBB7_8
.LBB7_21:
	s_mov_b64 s[8:9], 0
	v_mov_b32_e32 v13, 2
	s_branch .LBB7_23
.LBB7_22:
	s_or_b64 exec, exec, s[26:27]
.LBB7_23:
	s_orn2_b64 s[18:19], s[8:9], exec
.LBB7_24:
	s_or_b64 exec, exec, s[16:17]
	s_andn2_b64 s[0:1], s[12:13], exec
	s_and_b64 s[8:9], s[18:19], exec
	s_or_b64 s[12:13], s[0:1], s[8:9]
.LBB7_25:
	s_or_b64 exec, exec, s[14:15]
	s_andn2_b64 s[0:1], s[2:3], exec
	s_and_b64 s[2:3], s[12:13], exec
	s_or_b64 s[2:3], s[0:1], s[2:3]
.LBB7_26:
	s_or_b64 exec, exec, s[6:7]
	s_and_b64 exec, exec, s[2:3]
	s_cbranch_execz .LBB7_28
; %bb.27:
	s_load_dwordx2 s[0:1], s[4:5], 0x38
	v_mov_b32_e32 v0, 0
	s_waitcnt lgkmcnt(0)
	global_store_dword v0, v13, s[0:1]
.LBB7_28:
	s_endpgm
	.section	.rodata,"a",@progbits
	.p2align	6, 0x0
	.amdhsa_kernel _ZN9rocsparseL23check_matrix_ell_deviceILj256E21rocsparse_complex_numIdElEEvT1_S3_S3_PKT0_PKS3_21rocsparse_index_base_22rocsparse_matrix_type_20rocsparse_fill_mode_23rocsparse_storage_mode_P22rocsparse_data_status_
		.amdhsa_group_segment_fixed_size 0
		.amdhsa_private_segment_fixed_size 0
		.amdhsa_kernarg_size 64
		.amdhsa_user_sgpr_count 6
		.amdhsa_user_sgpr_private_segment_buffer 1
		.amdhsa_user_sgpr_dispatch_ptr 0
		.amdhsa_user_sgpr_queue_ptr 0
		.amdhsa_user_sgpr_kernarg_segment_ptr 1
		.amdhsa_user_sgpr_dispatch_id 0
		.amdhsa_user_sgpr_flat_scratch_init 0
		.amdhsa_user_sgpr_private_segment_size 0
		.amdhsa_uses_dynamic_stack 0
		.amdhsa_system_sgpr_private_segment_wavefront_offset 0
		.amdhsa_system_sgpr_workgroup_id_x 1
		.amdhsa_system_sgpr_workgroup_id_y 0
		.amdhsa_system_sgpr_workgroup_id_z 0
		.amdhsa_system_sgpr_workgroup_info 0
		.amdhsa_system_vgpr_workitem_id 0
		.amdhsa_next_free_vgpr 14
		.amdhsa_next_free_sgpr 52
		.amdhsa_reserve_vcc 1
		.amdhsa_reserve_flat_scratch 0
		.amdhsa_float_round_mode_32 0
		.amdhsa_float_round_mode_16_64 0
		.amdhsa_float_denorm_mode_32 3
		.amdhsa_float_denorm_mode_16_64 3
		.amdhsa_dx10_clamp 1
		.amdhsa_ieee_mode 1
		.amdhsa_fp16_overflow 0
		.amdhsa_exception_fp_ieee_invalid_op 0
		.amdhsa_exception_fp_denorm_src 0
		.amdhsa_exception_fp_ieee_div_zero 0
		.amdhsa_exception_fp_ieee_overflow 0
		.amdhsa_exception_fp_ieee_underflow 0
		.amdhsa_exception_fp_ieee_inexact 0
		.amdhsa_exception_int_div_zero 0
	.end_amdhsa_kernel
	.section	.text._ZN9rocsparseL23check_matrix_ell_deviceILj256E21rocsparse_complex_numIdElEEvT1_S3_S3_PKT0_PKS3_21rocsparse_index_base_22rocsparse_matrix_type_20rocsparse_fill_mode_23rocsparse_storage_mode_P22rocsparse_data_status_,"axG",@progbits,_ZN9rocsparseL23check_matrix_ell_deviceILj256E21rocsparse_complex_numIdElEEvT1_S3_S3_PKT0_PKS3_21rocsparse_index_base_22rocsparse_matrix_type_20rocsparse_fill_mode_23rocsparse_storage_mode_P22rocsparse_data_status_,comdat
.Lfunc_end7:
	.size	_ZN9rocsparseL23check_matrix_ell_deviceILj256E21rocsparse_complex_numIdElEEvT1_S3_S3_PKT0_PKS3_21rocsparse_index_base_22rocsparse_matrix_type_20rocsparse_fill_mode_23rocsparse_storage_mode_P22rocsparse_data_status_, .Lfunc_end7-_ZN9rocsparseL23check_matrix_ell_deviceILj256E21rocsparse_complex_numIdElEEvT1_S3_S3_PKT0_PKS3_21rocsparse_index_base_22rocsparse_matrix_type_20rocsparse_fill_mode_23rocsparse_storage_mode_P22rocsparse_data_status_
                                        ; -- End function
	.set _ZN9rocsparseL23check_matrix_ell_deviceILj256E21rocsparse_complex_numIdElEEvT1_S3_S3_PKT0_PKS3_21rocsparse_index_base_22rocsparse_matrix_type_20rocsparse_fill_mode_23rocsparse_storage_mode_P22rocsparse_data_status_.num_vgpr, 14
	.set _ZN9rocsparseL23check_matrix_ell_deviceILj256E21rocsparse_complex_numIdElEEvT1_S3_S3_PKT0_PKS3_21rocsparse_index_base_22rocsparse_matrix_type_20rocsparse_fill_mode_23rocsparse_storage_mode_P22rocsparse_data_status_.num_agpr, 0
	.set _ZN9rocsparseL23check_matrix_ell_deviceILj256E21rocsparse_complex_numIdElEEvT1_S3_S3_PKT0_PKS3_21rocsparse_index_base_22rocsparse_matrix_type_20rocsparse_fill_mode_23rocsparse_storage_mode_P22rocsparse_data_status_.numbered_sgpr, 52
	.set _ZN9rocsparseL23check_matrix_ell_deviceILj256E21rocsparse_complex_numIdElEEvT1_S3_S3_PKT0_PKS3_21rocsparse_index_base_22rocsparse_matrix_type_20rocsparse_fill_mode_23rocsparse_storage_mode_P22rocsparse_data_status_.num_named_barrier, 0
	.set _ZN9rocsparseL23check_matrix_ell_deviceILj256E21rocsparse_complex_numIdElEEvT1_S3_S3_PKT0_PKS3_21rocsparse_index_base_22rocsparse_matrix_type_20rocsparse_fill_mode_23rocsparse_storage_mode_P22rocsparse_data_status_.private_seg_size, 0
	.set _ZN9rocsparseL23check_matrix_ell_deviceILj256E21rocsparse_complex_numIdElEEvT1_S3_S3_PKT0_PKS3_21rocsparse_index_base_22rocsparse_matrix_type_20rocsparse_fill_mode_23rocsparse_storage_mode_P22rocsparse_data_status_.uses_vcc, 1
	.set _ZN9rocsparseL23check_matrix_ell_deviceILj256E21rocsparse_complex_numIdElEEvT1_S3_S3_PKT0_PKS3_21rocsparse_index_base_22rocsparse_matrix_type_20rocsparse_fill_mode_23rocsparse_storage_mode_P22rocsparse_data_status_.uses_flat_scratch, 0
	.set _ZN9rocsparseL23check_matrix_ell_deviceILj256E21rocsparse_complex_numIdElEEvT1_S3_S3_PKT0_PKS3_21rocsparse_index_base_22rocsparse_matrix_type_20rocsparse_fill_mode_23rocsparse_storage_mode_P22rocsparse_data_status_.has_dyn_sized_stack, 0
	.set _ZN9rocsparseL23check_matrix_ell_deviceILj256E21rocsparse_complex_numIdElEEvT1_S3_S3_PKT0_PKS3_21rocsparse_index_base_22rocsparse_matrix_type_20rocsparse_fill_mode_23rocsparse_storage_mode_P22rocsparse_data_status_.has_recursion, 0
	.set _ZN9rocsparseL23check_matrix_ell_deviceILj256E21rocsparse_complex_numIdElEEvT1_S3_S3_PKT0_PKS3_21rocsparse_index_base_22rocsparse_matrix_type_20rocsparse_fill_mode_23rocsparse_storage_mode_P22rocsparse_data_status_.has_indirect_call, 0
	.section	.AMDGPU.csdata,"",@progbits
; Kernel info:
; codeLenInByte = 844
; TotalNumSgprs: 56
; NumVgprs: 14
; ScratchSize: 0
; MemoryBound: 1
; FloatMode: 240
; IeeeMode: 1
; LDSByteSize: 0 bytes/workgroup (compile time only)
; SGPRBlocks: 6
; VGPRBlocks: 3
; NumSGPRsForWavesPerEU: 56
; NumVGPRsForWavesPerEU: 14
; Occupancy: 10
; WaveLimiterHint : 0
; COMPUTE_PGM_RSRC2:SCRATCH_EN: 0
; COMPUTE_PGM_RSRC2:USER_SGPR: 6
; COMPUTE_PGM_RSRC2:TRAP_HANDLER: 0
; COMPUTE_PGM_RSRC2:TGID_X_EN: 1
; COMPUTE_PGM_RSRC2:TGID_Y_EN: 0
; COMPUTE_PGM_RSRC2:TGID_Z_EN: 0
; COMPUTE_PGM_RSRC2:TIDIG_COMP_CNT: 0
	.section	.AMDGPU.gpr_maximums,"",@progbits
	.set amdgpu.max_num_vgpr, 0
	.set amdgpu.max_num_agpr, 0
	.set amdgpu.max_num_sgpr, 0
	.section	.AMDGPU.csdata,"",@progbits
	.type	__hip_cuid_d7a6f6bed0da5e12,@object ; @__hip_cuid_d7a6f6bed0da5e12
	.section	.bss,"aw",@nobits
	.globl	__hip_cuid_d7a6f6bed0da5e12
__hip_cuid_d7a6f6bed0da5e12:
	.byte	0                               ; 0x0
	.size	__hip_cuid_d7a6f6bed0da5e12, 1

	.ident	"AMD clang version 22.0.0git (https://github.com/RadeonOpenCompute/llvm-project roc-7.2.4 26084 f58b06dce1f9c15707c5f808fd002e18c2accf7e)"
	.section	".note.GNU-stack","",@progbits
	.addrsig
	.addrsig_sym __hip_cuid_d7a6f6bed0da5e12
	.amdgpu_metadata
---
amdhsa.kernels:
  - .args:
      - .offset:         0
        .size:           4
        .value_kind:     by_value
      - .offset:         4
        .size:           4
        .value_kind:     by_value
      - .offset:         8
        .size:           4
        .value_kind:     by_value
      - .actual_access:  read_only
        .address_space:  global
        .offset:         16
        .size:           8
        .value_kind:     global_buffer
      - .actual_access:  read_only
        .address_space:  global
        .offset:         24
        .size:           8
        .value_kind:     global_buffer
      - .offset:         32
        .size:           4
        .value_kind:     by_value
      - .offset:         36
        .size:           4
        .value_kind:     by_value
      - .offset:         40
        .size:           4
        .value_kind:     by_value
      - .offset:         44
        .size:           4
        .value_kind:     by_value
      - .address_space:  global
        .offset:         48
        .size:           8
        .value_kind:     global_buffer
    .group_segment_fixed_size: 0
    .kernarg_segment_align: 8
    .kernarg_segment_size: 56
    .language:       OpenCL C
    .language_version:
      - 2
      - 0
    .max_flat_workgroup_size: 256
    .name:           _ZN9rocsparseL23check_matrix_ell_deviceILj256EfiEEvT1_S1_S1_PKT0_PKS1_21rocsparse_index_base_22rocsparse_matrix_type_20rocsparse_fill_mode_23rocsparse_storage_mode_P22rocsparse_data_status_
    .private_segment_fixed_size: 0
    .sgpr_count:     57
    .sgpr_spill_count: 0
    .symbol:         _ZN9rocsparseL23check_matrix_ell_deviceILj256EfiEEvT1_S1_S1_PKT0_PKS1_21rocsparse_index_base_22rocsparse_matrix_type_20rocsparse_fill_mode_23rocsparse_storage_mode_P22rocsparse_data_status_.kd
    .uniform_work_group_size: 1
    .uses_dynamic_stack: false
    .vgpr_count:     10
    .vgpr_spill_count: 0
    .wavefront_size: 64
  - .args:
      - .offset:         0
        .size:           4
        .value_kind:     by_value
      - .offset:         4
        .size:           4
        .value_kind:     by_value
      - .offset:         8
        .size:           4
        .value_kind:     by_value
      - .actual_access:  read_only
        .address_space:  global
        .offset:         16
        .size:           8
        .value_kind:     global_buffer
      - .actual_access:  read_only
        .address_space:  global
        .offset:         24
        .size:           8
        .value_kind:     global_buffer
      - .offset:         32
        .size:           4
        .value_kind:     by_value
      - .offset:         36
        .size:           4
        .value_kind:     by_value
      - .offset:         40
        .size:           4
        .value_kind:     by_value
      - .offset:         44
        .size:           4
        .value_kind:     by_value
      - .address_space:  global
        .offset:         48
        .size:           8
        .value_kind:     global_buffer
    .group_segment_fixed_size: 0
    .kernarg_segment_align: 8
    .kernarg_segment_size: 56
    .language:       OpenCL C
    .language_version:
      - 2
      - 0
    .max_flat_workgroup_size: 256
    .name:           _ZN9rocsparseL23check_matrix_ell_deviceILj256EdiEEvT1_S1_S1_PKT0_PKS1_21rocsparse_index_base_22rocsparse_matrix_type_20rocsparse_fill_mode_23rocsparse_storage_mode_P22rocsparse_data_status_
    .private_segment_fixed_size: 0
    .sgpr_count:     57
    .sgpr_spill_count: 0
    .symbol:         _ZN9rocsparseL23check_matrix_ell_deviceILj256EdiEEvT1_S1_S1_PKT0_PKS1_21rocsparse_index_base_22rocsparse_matrix_type_20rocsparse_fill_mode_23rocsparse_storage_mode_P22rocsparse_data_status_.kd
    .uniform_work_group_size: 1
    .uses_dynamic_stack: false
    .vgpr_count:     10
    .vgpr_spill_count: 0
    .wavefront_size: 64
  - .args:
      - .offset:         0
        .size:           4
        .value_kind:     by_value
      - .offset:         4
        .size:           4
        .value_kind:     by_value
      - .offset:         8
        .size:           4
        .value_kind:     by_value
      - .actual_access:  read_only
        .address_space:  global
        .offset:         16
        .size:           8
        .value_kind:     global_buffer
      - .actual_access:  read_only
        .address_space:  global
        .offset:         24
        .size:           8
        .value_kind:     global_buffer
      - .offset:         32
        .size:           4
        .value_kind:     by_value
      - .offset:         36
        .size:           4
        .value_kind:     by_value
      - .offset:         40
        .size:           4
        .value_kind:     by_value
      - .offset:         44
        .size:           4
        .value_kind:     by_value
      - .address_space:  global
        .offset:         48
        .size:           8
        .value_kind:     global_buffer
    .group_segment_fixed_size: 0
    .kernarg_segment_align: 8
    .kernarg_segment_size: 56
    .language:       OpenCL C
    .language_version:
      - 2
      - 0
    .max_flat_workgroup_size: 256
    .name:           _ZN9rocsparseL23check_matrix_ell_deviceILj256E21rocsparse_complex_numIfEiEEvT1_S3_S3_PKT0_PKS3_21rocsparse_index_base_22rocsparse_matrix_type_20rocsparse_fill_mode_23rocsparse_storage_mode_P22rocsparse_data_status_
    .private_segment_fixed_size: 0
    .sgpr_count:     56
    .sgpr_spill_count: 0
    .symbol:         _ZN9rocsparseL23check_matrix_ell_deviceILj256E21rocsparse_complex_numIfEiEEvT1_S3_S3_PKT0_PKS3_21rocsparse_index_base_22rocsparse_matrix_type_20rocsparse_fill_mode_23rocsparse_storage_mode_P22rocsparse_data_status_.kd
    .uniform_work_group_size: 1
    .uses_dynamic_stack: false
    .vgpr_count:     10
    .vgpr_spill_count: 0
    .wavefront_size: 64
  - .args:
      - .offset:         0
        .size:           4
        .value_kind:     by_value
      - .offset:         4
        .size:           4
        .value_kind:     by_value
      - .offset:         8
        .size:           4
        .value_kind:     by_value
      - .actual_access:  read_only
        .address_space:  global
        .offset:         16
        .size:           8
        .value_kind:     global_buffer
      - .actual_access:  read_only
        .address_space:  global
        .offset:         24
        .size:           8
        .value_kind:     global_buffer
      - .offset:         32
        .size:           4
        .value_kind:     by_value
      - .offset:         36
        .size:           4
        .value_kind:     by_value
      - .offset:         40
        .size:           4
        .value_kind:     by_value
      - .offset:         44
        .size:           4
        .value_kind:     by_value
      - .address_space:  global
        .offset:         48
        .size:           8
        .value_kind:     global_buffer
    .group_segment_fixed_size: 0
    .kernarg_segment_align: 8
    .kernarg_segment_size: 56
    .language:       OpenCL C
    .language_version:
      - 2
      - 0
    .max_flat_workgroup_size: 256
    .name:           _ZN9rocsparseL23check_matrix_ell_deviceILj256E21rocsparse_complex_numIdEiEEvT1_S3_S3_PKT0_PKS3_21rocsparse_index_base_22rocsparse_matrix_type_20rocsparse_fill_mode_23rocsparse_storage_mode_P22rocsparse_data_status_
    .private_segment_fixed_size: 0
    .sgpr_count:     57
    .sgpr_spill_count: 0
    .symbol:         _ZN9rocsparseL23check_matrix_ell_deviceILj256E21rocsparse_complex_numIdEiEEvT1_S3_S3_PKT0_PKS3_21rocsparse_index_base_22rocsparse_matrix_type_20rocsparse_fill_mode_23rocsparse_storage_mode_P22rocsparse_data_status_.kd
    .uniform_work_group_size: 1
    .uses_dynamic_stack: false
    .vgpr_count:     12
    .vgpr_spill_count: 0
    .wavefront_size: 64
  - .args:
      - .offset:         0
        .size:           8
        .value_kind:     by_value
      - .offset:         8
        .size:           8
        .value_kind:     by_value
      - .offset:         16
        .size:           8
        .value_kind:     by_value
      - .actual_access:  read_only
        .address_space:  global
        .offset:         24
        .size:           8
        .value_kind:     global_buffer
      - .actual_access:  read_only
        .address_space:  global
        .offset:         32
        .size:           8
        .value_kind:     global_buffer
      - .offset:         40
        .size:           4
        .value_kind:     by_value
      - .offset:         44
        .size:           4
        .value_kind:     by_value
      - .offset:         48
        .size:           4
        .value_kind:     by_value
      - .offset:         52
        .size:           4
        .value_kind:     by_value
      - .address_space:  global
        .offset:         56
        .size:           8
        .value_kind:     global_buffer
    .group_segment_fixed_size: 0
    .kernarg_segment_align: 8
    .kernarg_segment_size: 64
    .language:       OpenCL C
    .language_version:
      - 2
      - 0
    .max_flat_workgroup_size: 256
    .name:           _ZN9rocsparseL23check_matrix_ell_deviceILj256EflEEvT1_S1_S1_PKT0_PKS1_21rocsparse_index_base_22rocsparse_matrix_type_20rocsparse_fill_mode_23rocsparse_storage_mode_P22rocsparse_data_status_
    .private_segment_fixed_size: 0
    .sgpr_count:     55
    .sgpr_spill_count: 0
    .symbol:         _ZN9rocsparseL23check_matrix_ell_deviceILj256EflEEvT1_S1_S1_PKT0_PKS1_21rocsparse_index_base_22rocsparse_matrix_type_20rocsparse_fill_mode_23rocsparse_storage_mode_P22rocsparse_data_status_.kd
    .uniform_work_group_size: 1
    .uses_dynamic_stack: false
    .vgpr_count:     11
    .vgpr_spill_count: 0
    .wavefront_size: 64
  - .args:
      - .offset:         0
        .size:           8
        .value_kind:     by_value
      - .offset:         8
        .size:           8
        .value_kind:     by_value
      - .offset:         16
        .size:           8
        .value_kind:     by_value
      - .actual_access:  read_only
        .address_space:  global
        .offset:         24
        .size:           8
        .value_kind:     global_buffer
      - .actual_access:  read_only
        .address_space:  global
        .offset:         32
        .size:           8
        .value_kind:     global_buffer
      - .offset:         40
        .size:           4
        .value_kind:     by_value
      - .offset:         44
        .size:           4
        .value_kind:     by_value
      - .offset:         48
        .size:           4
        .value_kind:     by_value
      - .offset:         52
        .size:           4
        .value_kind:     by_value
      - .address_space:  global
        .offset:         56
        .size:           8
        .value_kind:     global_buffer
    .group_segment_fixed_size: 0
    .kernarg_segment_align: 8
    .kernarg_segment_size: 64
    .language:       OpenCL C
    .language_version:
      - 2
      - 0
    .max_flat_workgroup_size: 256
    .name:           _ZN9rocsparseL23check_matrix_ell_deviceILj256EdlEEvT1_S1_S1_PKT0_PKS1_21rocsparse_index_base_22rocsparse_matrix_type_20rocsparse_fill_mode_23rocsparse_storage_mode_P22rocsparse_data_status_
    .private_segment_fixed_size: 0
    .sgpr_count:     54
    .sgpr_spill_count: 0
    .symbol:         _ZN9rocsparseL23check_matrix_ell_deviceILj256EdlEEvT1_S1_S1_PKT0_PKS1_21rocsparse_index_base_22rocsparse_matrix_type_20rocsparse_fill_mode_23rocsparse_storage_mode_P22rocsparse_data_status_.kd
    .uniform_work_group_size: 1
    .uses_dynamic_stack: false
    .vgpr_count:     12
    .vgpr_spill_count: 0
    .wavefront_size: 64
  - .args:
      - .offset:         0
        .size:           8
        .value_kind:     by_value
      - .offset:         8
        .size:           8
        .value_kind:     by_value
      - .offset:         16
        .size:           8
        .value_kind:     by_value
      - .actual_access:  read_only
        .address_space:  global
        .offset:         24
        .size:           8
        .value_kind:     global_buffer
      - .actual_access:  read_only
        .address_space:  global
        .offset:         32
        .size:           8
        .value_kind:     global_buffer
      - .offset:         40
        .size:           4
        .value_kind:     by_value
      - .offset:         44
        .size:           4
        .value_kind:     by_value
      - .offset:         48
        .size:           4
        .value_kind:     by_value
      - .offset:         52
        .size:           4
        .value_kind:     by_value
      - .address_space:  global
        .offset:         56
        .size:           8
        .value_kind:     global_buffer
    .group_segment_fixed_size: 0
    .kernarg_segment_align: 8
    .kernarg_segment_size: 64
    .language:       OpenCL C
    .language_version:
      - 2
      - 0
    .max_flat_workgroup_size: 256
    .name:           _ZN9rocsparseL23check_matrix_ell_deviceILj256E21rocsparse_complex_numIfElEEvT1_S3_S3_PKT0_PKS3_21rocsparse_index_base_22rocsparse_matrix_type_20rocsparse_fill_mode_23rocsparse_storage_mode_P22rocsparse_data_status_
    .private_segment_fixed_size: 0
    .sgpr_count:     59
    .sgpr_spill_count: 0
    .symbol:         _ZN9rocsparseL23check_matrix_ell_deviceILj256E21rocsparse_complex_numIfElEEvT1_S3_S3_PKT0_PKS3_21rocsparse_index_base_22rocsparse_matrix_type_20rocsparse_fill_mode_23rocsparse_storage_mode_P22rocsparse_data_status_.kd
    .uniform_work_group_size: 1
    .uses_dynamic_stack: false
    .vgpr_count:     8
    .vgpr_spill_count: 0
    .wavefront_size: 64
  - .args:
      - .offset:         0
        .size:           8
        .value_kind:     by_value
      - .offset:         8
        .size:           8
        .value_kind:     by_value
      - .offset:         16
        .size:           8
        .value_kind:     by_value
      - .actual_access:  read_only
        .address_space:  global
        .offset:         24
        .size:           8
        .value_kind:     global_buffer
      - .actual_access:  read_only
        .address_space:  global
        .offset:         32
        .size:           8
        .value_kind:     global_buffer
      - .offset:         40
        .size:           4
        .value_kind:     by_value
      - .offset:         44
        .size:           4
        .value_kind:     by_value
      - .offset:         48
        .size:           4
        .value_kind:     by_value
      - .offset:         52
        .size:           4
        .value_kind:     by_value
      - .address_space:  global
        .offset:         56
        .size:           8
        .value_kind:     global_buffer
    .group_segment_fixed_size: 0
    .kernarg_segment_align: 8
    .kernarg_segment_size: 64
    .language:       OpenCL C
    .language_version:
      - 2
      - 0
    .max_flat_workgroup_size: 256
    .name:           _ZN9rocsparseL23check_matrix_ell_deviceILj256E21rocsparse_complex_numIdElEEvT1_S3_S3_PKT0_PKS3_21rocsparse_index_base_22rocsparse_matrix_type_20rocsparse_fill_mode_23rocsparse_storage_mode_P22rocsparse_data_status_
    .private_segment_fixed_size: 0
    .sgpr_count:     56
    .sgpr_spill_count: 0
    .symbol:         _ZN9rocsparseL23check_matrix_ell_deviceILj256E21rocsparse_complex_numIdElEEvT1_S3_S3_PKT0_PKS3_21rocsparse_index_base_22rocsparse_matrix_type_20rocsparse_fill_mode_23rocsparse_storage_mode_P22rocsparse_data_status_.kd
    .uniform_work_group_size: 1
    .uses_dynamic_stack: false
    .vgpr_count:     14
    .vgpr_spill_count: 0
    .wavefront_size: 64
amdhsa.target:   amdgcn-amd-amdhsa--gfx906
amdhsa.version:
  - 1
  - 2
...

	.end_amdgpu_metadata
